;; amdgpu-corpus repo=ROCm/rocFFT kind=compiled arch=gfx906 opt=O3
	.text
	.amdgcn_target "amdgcn-amd-amdhsa--gfx906"
	.amdhsa_code_object_version 6
	.protected	fft_rtc_back_len2000_factors_5_5_5_16_wgs_125_tpt_125_halfLds_dp_ip_CI_unitstride_sbrr_R2C_dirReg ; -- Begin function fft_rtc_back_len2000_factors_5_5_5_16_wgs_125_tpt_125_halfLds_dp_ip_CI_unitstride_sbrr_R2C_dirReg
	.globl	fft_rtc_back_len2000_factors_5_5_5_16_wgs_125_tpt_125_halfLds_dp_ip_CI_unitstride_sbrr_R2C_dirReg
	.p2align	8
	.type	fft_rtc_back_len2000_factors_5_5_5_16_wgs_125_tpt_125_halfLds_dp_ip_CI_unitstride_sbrr_R2C_dirReg,@function
fft_rtc_back_len2000_factors_5_5_5_16_wgs_125_tpt_125_halfLds_dp_ip_CI_unitstride_sbrr_R2C_dirReg: ; @fft_rtc_back_len2000_factors_5_5_5_16_wgs_125_tpt_125_halfLds_dp_ip_CI_unitstride_sbrr_R2C_dirReg
; %bb.0:
	s_load_dwordx2 s[2:3], s[4:5], 0x50
	s_load_dwordx4 s[8:11], s[4:5], 0x0
	s_load_dwordx2 s[12:13], s[4:5], 0x18
	v_mul_u32_u24_e32 v1, 0x20d, v0
	v_add_u32_sdwa v5, s6, v1 dst_sel:DWORD dst_unused:UNUSED_PAD src0_sel:DWORD src1_sel:WORD_1
	v_mov_b32_e32 v3, 0
	s_waitcnt lgkmcnt(0)
	v_cmp_lt_u64_e64 s[0:1], s[10:11], 2
	v_mov_b32_e32 v1, 0
	v_mov_b32_e32 v6, v3
	s_and_b64 vcc, exec, s[0:1]
	v_mov_b32_e32 v2, 0
	s_cbranch_vccnz .LBB0_8
; %bb.1:
	s_load_dwordx2 s[0:1], s[4:5], 0x10
	s_add_u32 s6, s12, 8
	s_addc_u32 s7, s13, 0
	v_mov_b32_e32 v1, 0
	v_mov_b32_e32 v2, 0
	s_waitcnt lgkmcnt(0)
	s_add_u32 s14, s0, 8
	s_addc_u32 s15, s1, 0
	s_mov_b64 s[16:17], 1
.LBB0_2:                                ; =>This Inner Loop Header: Depth=1
	s_load_dwordx2 s[18:19], s[14:15], 0x0
                                        ; implicit-def: $vgpr7_vgpr8
	s_waitcnt lgkmcnt(0)
	v_or_b32_e32 v4, s19, v6
	v_cmp_ne_u64_e32 vcc, 0, v[3:4]
	s_and_saveexec_b64 s[0:1], vcc
	s_xor_b64 s[20:21], exec, s[0:1]
	s_cbranch_execz .LBB0_4
; %bb.3:                                ;   in Loop: Header=BB0_2 Depth=1
	v_cvt_f32_u32_e32 v4, s18
	v_cvt_f32_u32_e32 v7, s19
	s_sub_u32 s0, 0, s18
	s_subb_u32 s1, 0, s19
	v_mac_f32_e32 v4, 0x4f800000, v7
	v_rcp_f32_e32 v4, v4
	v_mul_f32_e32 v4, 0x5f7ffffc, v4
	v_mul_f32_e32 v7, 0x2f800000, v4
	v_trunc_f32_e32 v7, v7
	v_mac_f32_e32 v4, 0xcf800000, v7
	v_cvt_u32_f32_e32 v7, v7
	v_cvt_u32_f32_e32 v4, v4
	v_mul_lo_u32 v8, s0, v7
	v_mul_hi_u32 v9, s0, v4
	v_mul_lo_u32 v11, s1, v4
	v_mul_lo_u32 v10, s0, v4
	v_add_u32_e32 v8, v9, v8
	v_add_u32_e32 v8, v8, v11
	v_mul_hi_u32 v9, v4, v10
	v_mul_lo_u32 v11, v4, v8
	v_mul_hi_u32 v13, v4, v8
	v_mul_hi_u32 v12, v7, v10
	v_mul_lo_u32 v10, v7, v10
	v_mul_hi_u32 v14, v7, v8
	v_add_co_u32_e32 v9, vcc, v9, v11
	v_addc_co_u32_e32 v11, vcc, 0, v13, vcc
	v_mul_lo_u32 v8, v7, v8
	v_add_co_u32_e32 v9, vcc, v9, v10
	v_addc_co_u32_e32 v9, vcc, v11, v12, vcc
	v_addc_co_u32_e32 v10, vcc, 0, v14, vcc
	v_add_co_u32_e32 v8, vcc, v9, v8
	v_addc_co_u32_e32 v9, vcc, 0, v10, vcc
	v_add_co_u32_e32 v4, vcc, v4, v8
	v_addc_co_u32_e32 v7, vcc, v7, v9, vcc
	v_mul_lo_u32 v8, s0, v7
	v_mul_hi_u32 v9, s0, v4
	v_mul_lo_u32 v10, s1, v4
	v_mul_lo_u32 v11, s0, v4
	v_add_u32_e32 v8, v9, v8
	v_add_u32_e32 v8, v8, v10
	v_mul_lo_u32 v12, v4, v8
	v_mul_hi_u32 v13, v4, v11
	v_mul_hi_u32 v14, v4, v8
	;; [unrolled: 1-line block ×3, first 2 shown]
	v_mul_lo_u32 v11, v7, v11
	v_mul_hi_u32 v9, v7, v8
	v_add_co_u32_e32 v12, vcc, v13, v12
	v_addc_co_u32_e32 v13, vcc, 0, v14, vcc
	v_mul_lo_u32 v8, v7, v8
	v_add_co_u32_e32 v11, vcc, v12, v11
	v_addc_co_u32_e32 v10, vcc, v13, v10, vcc
	v_addc_co_u32_e32 v9, vcc, 0, v9, vcc
	v_add_co_u32_e32 v8, vcc, v10, v8
	v_addc_co_u32_e32 v9, vcc, 0, v9, vcc
	v_add_co_u32_e32 v4, vcc, v4, v8
	v_addc_co_u32_e32 v9, vcc, v7, v9, vcc
	v_mad_u64_u32 v[7:8], s[0:1], v5, v9, 0
	v_mul_hi_u32 v10, v5, v4
	v_add_co_u32_e32 v11, vcc, v10, v7
	v_addc_co_u32_e32 v12, vcc, 0, v8, vcc
	v_mad_u64_u32 v[7:8], s[0:1], v6, v4, 0
	v_mad_u64_u32 v[9:10], s[0:1], v6, v9, 0
	v_add_co_u32_e32 v4, vcc, v11, v7
	v_addc_co_u32_e32 v4, vcc, v12, v8, vcc
	v_addc_co_u32_e32 v7, vcc, 0, v10, vcc
	v_add_co_u32_e32 v4, vcc, v4, v9
	v_addc_co_u32_e32 v9, vcc, 0, v7, vcc
	v_mul_lo_u32 v10, s19, v4
	v_mul_lo_u32 v11, s18, v9
	v_mad_u64_u32 v[7:8], s[0:1], s18, v4, 0
	v_add3_u32 v8, v8, v11, v10
	v_sub_u32_e32 v10, v6, v8
	v_mov_b32_e32 v11, s19
	v_sub_co_u32_e32 v7, vcc, v5, v7
	v_subb_co_u32_e64 v10, s[0:1], v10, v11, vcc
	v_subrev_co_u32_e64 v11, s[0:1], s18, v7
	v_subbrev_co_u32_e64 v10, s[0:1], 0, v10, s[0:1]
	v_cmp_le_u32_e64 s[0:1], s19, v10
	v_cndmask_b32_e64 v12, 0, -1, s[0:1]
	v_cmp_le_u32_e64 s[0:1], s18, v11
	v_cndmask_b32_e64 v11, 0, -1, s[0:1]
	v_cmp_eq_u32_e64 s[0:1], s19, v10
	v_cndmask_b32_e64 v10, v12, v11, s[0:1]
	v_add_co_u32_e64 v11, s[0:1], 2, v4
	v_addc_co_u32_e64 v12, s[0:1], 0, v9, s[0:1]
	v_add_co_u32_e64 v13, s[0:1], 1, v4
	v_addc_co_u32_e64 v14, s[0:1], 0, v9, s[0:1]
	v_subb_co_u32_e32 v8, vcc, v6, v8, vcc
	v_cmp_ne_u32_e64 s[0:1], 0, v10
	v_cmp_le_u32_e32 vcc, s19, v8
	v_cndmask_b32_e64 v10, v14, v12, s[0:1]
	v_cndmask_b32_e64 v12, 0, -1, vcc
	v_cmp_le_u32_e32 vcc, s18, v7
	v_cndmask_b32_e64 v7, 0, -1, vcc
	v_cmp_eq_u32_e32 vcc, s19, v8
	v_cndmask_b32_e32 v7, v12, v7, vcc
	v_cmp_ne_u32_e32 vcc, 0, v7
	v_cndmask_b32_e64 v7, v13, v11, s[0:1]
	v_cndmask_b32_e32 v8, v9, v10, vcc
	v_cndmask_b32_e32 v7, v4, v7, vcc
.LBB0_4:                                ;   in Loop: Header=BB0_2 Depth=1
	s_andn2_saveexec_b64 s[0:1], s[20:21]
	s_cbranch_execz .LBB0_6
; %bb.5:                                ;   in Loop: Header=BB0_2 Depth=1
	v_cvt_f32_u32_e32 v4, s18
	s_sub_i32 s20, 0, s18
	v_rcp_iflag_f32_e32 v4, v4
	v_mul_f32_e32 v4, 0x4f7ffffe, v4
	v_cvt_u32_f32_e32 v4, v4
	v_mul_lo_u32 v7, s20, v4
	v_mul_hi_u32 v7, v4, v7
	v_add_u32_e32 v4, v4, v7
	v_mul_hi_u32 v4, v5, v4
	v_mul_lo_u32 v7, v4, s18
	v_add_u32_e32 v8, 1, v4
	v_sub_u32_e32 v7, v5, v7
	v_subrev_u32_e32 v9, s18, v7
	v_cmp_le_u32_e32 vcc, s18, v7
	v_cndmask_b32_e32 v7, v7, v9, vcc
	v_cndmask_b32_e32 v4, v4, v8, vcc
	v_add_u32_e32 v8, 1, v4
	v_cmp_le_u32_e32 vcc, s18, v7
	v_cndmask_b32_e32 v7, v4, v8, vcc
	v_mov_b32_e32 v8, v3
.LBB0_6:                                ;   in Loop: Header=BB0_2 Depth=1
	s_or_b64 exec, exec, s[0:1]
	v_mul_lo_u32 v4, v8, s18
	v_mul_lo_u32 v11, v7, s19
	v_mad_u64_u32 v[9:10], s[0:1], v7, s18, 0
	s_load_dwordx2 s[0:1], s[6:7], 0x0
	s_add_u32 s16, s16, 1
	v_add3_u32 v4, v10, v11, v4
	v_sub_co_u32_e32 v5, vcc, v5, v9
	v_subb_co_u32_e32 v4, vcc, v6, v4, vcc
	s_waitcnt lgkmcnt(0)
	v_mul_lo_u32 v4, s0, v4
	v_mul_lo_u32 v6, s1, v5
	v_mad_u64_u32 v[1:2], s[0:1], s0, v5, v[1:2]
	s_addc_u32 s17, s17, 0
	s_add_u32 s6, s6, 8
	v_add3_u32 v2, v6, v2, v4
	v_mov_b32_e32 v4, s10
	v_mov_b32_e32 v5, s11
	s_addc_u32 s7, s7, 0
	v_cmp_ge_u64_e32 vcc, s[16:17], v[4:5]
	s_add_u32 s14, s14, 8
	s_addc_u32 s15, s15, 0
	s_cbranch_vccnz .LBB0_9
; %bb.7:                                ;   in Loop: Header=BB0_2 Depth=1
	v_mov_b32_e32 v5, v7
	v_mov_b32_e32 v6, v8
	s_branch .LBB0_2
.LBB0_8:
	v_mov_b32_e32 v8, v6
	v_mov_b32_e32 v7, v5
.LBB0_9:
	s_lshl_b64 s[0:1], s[10:11], 3
	s_add_u32 s0, s12, s0
	s_addc_u32 s1, s13, s1
	s_load_dwordx2 s[6:7], s[0:1], 0x0
	s_load_dwordx2 s[10:11], s[4:5], 0x20
                                        ; implicit-def: $vgpr88
                                        ; implicit-def: $vgpr91
                                        ; implicit-def: $vgpr90
	s_waitcnt lgkmcnt(0)
	v_mad_u64_u32 v[1:2], s[0:1], s6, v7, v[1:2]
	s_mov_b32 s0, 0x20c49bb
	v_mul_lo_u32 v3, s6, v8
	v_mul_lo_u32 v4, s7, v7
	v_mul_hi_u32 v5, v0, s0
	v_cmp_gt_u64_e64 s[0:1], s[10:11], v[7:8]
	v_cmp_le_u64_e32 vcc, s[10:11], v[7:8]
	v_add3_u32 v2, v4, v2, v3
	v_mul_u32_u24_e32 v3, 0x7d, v5
	v_sub_u32_e32 v84, v0, v3
	s_and_saveexec_b64 s[4:5], vcc
	s_xor_b64 s[4:5], exec, s[4:5]
; %bb.10:
	v_add_u32_e32 v88, 0x7d, v84
	v_add_u32_e32 v91, 0xfa, v84
	;; [unrolled: 1-line block ×3, first 2 shown]
; %bb.11:
	s_or_saveexec_b64 s[4:5], s[4:5]
	v_lshlrev_b64 v[86:87], 4, v[1:2]
	v_lshl_add_u32 v110, v84, 4, 0
	s_xor_b64 exec, exec, s[4:5]
	s_cbranch_execz .LBB0_13
; %bb.12:
	v_mov_b32_e32 v85, 0
	v_mov_b32_e32 v0, s3
	v_add_co_u32_e32 v2, vcc, s2, v86
	v_addc_co_u32_e32 v3, vcc, v0, v87, vcc
	v_lshlrev_b64 v[0:1], 4, v[84:85]
	s_movk_i32 s6, 0x1000
	v_add_co_u32_e32 v55, vcc, v2, v0
	v_addc_co_u32_e32 v56, vcc, v3, v1, vcc
	v_add_co_u32_e32 v24, vcc, s6, v55
	s_movk_i32 s7, 0x2000
	v_addc_co_u32_e32 v25, vcc, 0, v56, vcc
	v_add_co_u32_e32 v32, vcc, s7, v55
	v_addc_co_u32_e32 v33, vcc, 0, v56, vcc
	s_movk_i32 s6, 0x3000
	v_add_co_u32_e32 v40, vcc, s6, v55
	s_movk_i32 s7, 0x4000
	v_addc_co_u32_e32 v41, vcc, 0, v56, vcc
	v_add_co_u32_e32 v48, vcc, s7, v55
	v_addc_co_u32_e32 v49, vcc, 0, v56, vcc
	s_movk_i32 s6, 0x5000
	v_add_co_u32_e32 v57, vcc, s6, v55
	v_addc_co_u32_e32 v58, vcc, 0, v56, vcc
	v_add_co_u32_e32 v64, vcc, 0x6000, v55
	v_addc_co_u32_e32 v65, vcc, 0, v56, vcc
	v_add_co_u32_e32 v66, vcc, 0x7000, v55
	global_load_dwordx4 v[0:3], v[55:56], off
	global_load_dwordx4 v[4:7], v[55:56], off offset:2000
	global_load_dwordx4 v[8:11], v[55:56], off offset:4000
	;; [unrolled: 1-line block ×5, first 2 shown]
	s_nop 0
	global_load_dwordx4 v[24:27], v[32:33], off offset:3808
	global_load_dwordx4 v[28:31], v[40:41], off offset:1712
	s_nop 0
	global_load_dwordx4 v[32:35], v[40:41], off offset:3712
	global_load_dwordx4 v[36:39], v[48:49], off offset:1616
	s_nop 0
	global_load_dwordx4 v[40:43], v[48:49], off offset:3616
	global_load_dwordx4 v[44:47], v[57:58], off offset:1520
	s_nop 0
	global_load_dwordx4 v[48:51], v[57:58], off offset:3520
	global_load_dwordx4 v[52:55], v[64:65], off offset:1424
	v_addc_co_u32_e32 v67, vcc, 0, v56, vcc
	global_load_dwordx4 v[56:59], v[64:65], off offset:3424
	global_load_dwordx4 v[60:63], v[66:67], off offset:1328
	v_add_u32_e32 v88, 0x7d, v84
	v_add_u32_e32 v91, 0xfa, v84
	;; [unrolled: 1-line block ×3, first 2 shown]
	s_waitcnt vmcnt(15)
	ds_write_b128 v110, v[0:3]
	s_waitcnt vmcnt(14)
	ds_write_b128 v110, v[4:7] offset:2000
	s_waitcnt vmcnt(13)
	ds_write_b128 v110, v[8:11] offset:4000
	s_waitcnt vmcnt(12)
	ds_write_b128 v110, v[12:15] offset:6000
	s_waitcnt vmcnt(11)
	ds_write_b128 v110, v[16:19] offset:8000
	s_waitcnt vmcnt(10)
	ds_write_b128 v110, v[20:23] offset:10000
	s_waitcnt vmcnt(9)
	ds_write_b128 v110, v[24:27] offset:12000
	s_waitcnt vmcnt(8)
	ds_write_b128 v110, v[28:31] offset:14000
	s_waitcnt vmcnt(7)
	ds_write_b128 v110, v[32:35] offset:16000
	s_waitcnt vmcnt(6)
	ds_write_b128 v110, v[36:39] offset:18000
	s_waitcnt vmcnt(5)
	ds_write_b128 v110, v[40:43] offset:20000
	s_waitcnt vmcnt(4)
	ds_write_b128 v110, v[44:47] offset:22000
	s_waitcnt vmcnt(3)
	ds_write_b128 v110, v[48:51] offset:24000
	s_waitcnt vmcnt(2)
	ds_write_b128 v110, v[52:55] offset:26000
	s_waitcnt vmcnt(1)
	ds_write_b128 v110, v[56:59] offset:28000
	s_waitcnt vmcnt(0)
	ds_write_b128 v110, v[60:63] offset:30000
.LBB0_13:
	s_or_b64 exec, exec, s[4:5]
	s_waitcnt lgkmcnt(0)
	s_barrier
	ds_read_b128 v[20:23], v110 offset:6400
	ds_read_b128 v[24:27], v110
	ds_read_b128 v[28:31], v110 offset:12800
	ds_read_b128 v[32:35], v110 offset:19200
	;; [unrolled: 1-line block ×10, first 2 shown]
	s_waitcnt lgkmcnt(8)
	v_add_f64 v[6:7], v[28:29], v[32:33]
	s_waitcnt lgkmcnt(3)
	v_add_f64 v[92:93], v[22:23], -v[82:83]
	v_add_f64 v[94:95], v[20:21], v[80:81]
	s_mov_b32 s14, 0x134454ff
	s_mov_b32 s15, 0xbfee6f0e
	v_add_f64 v[4:5], v[24:25], v[20:21]
	v_add_f64 v[98:99], v[30:31], -v[34:35]
	v_add_f64 v[100:101], v[20:21], -v[28:29]
	v_fma_f64 v[6:7], v[6:7], -0.5, v[24:25]
	v_add_f64 v[102:103], v[80:81], -v[32:33]
	v_fma_f64 v[24:25], v[94:95], -0.5, v[24:25]
	s_mov_b32 s4, 0x4755a5e
	s_mov_b32 s5, 0xbfe2cf23
	;; [unrolled: 1-line block ×4, first 2 shown]
	v_add_f64 v[4:5], v[4:5], v[28:29]
	v_fma_f64 v[96:97], v[92:93], s[14:15], v[6:7]
	v_fma_f64 v[6:7], v[92:93], s[6:7], v[6:7]
	v_add_f64 v[108:109], v[26:27], v[22:23]
	s_mov_b32 s13, 0x3fe2cf23
	s_mov_b32 s12, s4
	v_add_f64 v[104:105], v[28:29], -v[20:21]
	v_add_f64 v[106:107], v[32:33], -v[80:81]
	v_add_f64 v[4:5], v[4:5], v[32:33]
	v_fma_f64 v[94:95], v[98:99], s[4:5], v[96:97]
	v_add_f64 v[96:97], v[100:101], v[102:103]
	v_fma_f64 v[102:103], v[98:99], s[6:7], v[24:25]
	v_fma_f64 v[24:25], v[98:99], s[14:15], v[24:25]
	v_add_f64 v[100:101], v[30:31], v[34:35]
	v_fma_f64 v[6:7], v[98:99], s[12:13], v[6:7]
	s_mov_b32 s10, 0x372fe950
	s_mov_b32 s11, 0x3fd3c6ef
	v_add_f64 v[4:5], v[4:5], v[80:81]
	v_add_f64 v[80:81], v[20:21], -v[80:81]
	v_fma_f64 v[98:99], v[92:93], s[4:5], v[102:103]
	v_fma_f64 v[24:25], v[92:93], s[12:13], v[24:25]
	v_add_f64 v[92:93], v[108:109], v[30:31]
	v_add_f64 v[108:109], v[22:23], v[82:83]
	v_fma_f64 v[100:101], v[100:101], -0.5, v[26:27]
	v_add_f64 v[102:103], v[104:105], v[106:107]
	v_add_f64 v[106:107], v[28:29], -v[32:33]
	v_fma_f64 v[32:33], v[96:97], s[10:11], v[94:95]
	v_fma_f64 v[20:21], v[96:97], s[10:11], v[6:7]
	v_add_f64 v[96:97], v[36:37], v[48:49]
	v_add_f64 v[94:95], v[22:23], -v[30:31]
	v_fma_f64 v[26:27], v[108:109], -0.5, v[26:27]
	v_fma_f64 v[104:105], v[80:81], s[6:7], v[100:101]
	v_fma_f64 v[28:29], v[102:103], s[10:11], v[98:99]
	v_add_f64 v[98:99], v[52:53], v[56:57]
	v_add_f64 v[22:23], v[30:31], -v[22:23]
	v_fma_f64 v[24:25], v[102:103], s[10:11], v[24:25]
	v_add_f64 v[96:97], v[96:97], v[52:53]
	v_add_f64 v[6:7], v[92:93], v[34:35]
	v_fma_f64 v[30:31], v[106:107], s[14:15], v[26:27]
	v_fma_f64 v[26:27], v[106:107], s[6:7], v[26:27]
	;; [unrolled: 1-line block ×3, first 2 shown]
	v_add_f64 v[102:103], v[82:83], -v[34:35]
	v_fma_f64 v[100:101], v[80:81], s[14:15], v[100:101]
	v_add_f64 v[34:35], v[34:35], -v[82:83]
	v_fma_f64 v[98:99], v[98:99], -0.5, v[36:37]
	s_waitcnt lgkmcnt(2)
	v_add_f64 v[104:105], v[50:51], -v[62:63]
	v_fma_f64 v[30:31], v[80:81], s[12:13], v[30:31]
	v_fma_f64 v[26:27], v[80:81], s[4:5], v[26:27]
	v_add_f64 v[80:81], v[96:97], v[56:57]
	v_add_f64 v[96:97], v[48:49], v[60:61]
	;; [unrolled: 1-line block ×3, first 2 shown]
	v_fma_f64 v[100:101], v[106:107], s[4:5], v[100:101]
	v_add_f64 v[102:103], v[22:23], v[34:35]
	v_fma_f64 v[106:107], v[104:105], s[14:15], v[98:99]
	v_add_f64 v[108:109], v[54:55], -v[58:59]
	v_add_f64 v[6:7], v[6:7], v[82:83]
	v_fma_f64 v[98:99], v[104:105], s[6:7], v[98:99]
	v_fma_f64 v[82:83], v[96:97], -0.5, v[36:37]
	v_fma_f64 v[34:35], v[94:95], s[10:11], v[92:93]
	v_fma_f64 v[22:23], v[94:95], s[10:11], v[100:101]
	;; [unrolled: 1-line block ×4, first 2 shown]
	v_add_f64 v[36:37], v[80:81], v[60:61]
	v_fma_f64 v[80:81], v[108:109], s[4:5], v[106:107]
	v_add_f64 v[92:93], v[48:49], -v[52:53]
	v_add_f64 v[94:95], v[60:61], -v[56:57]
	v_add_f64 v[96:97], v[38:39], v[50:51]
	v_fma_f64 v[102:103], v[108:109], s[6:7], v[82:83]
	v_add_f64 v[106:107], v[52:53], -v[48:49]
	v_add_f64 v[111:112], v[56:57], -v[60:61]
	v_fma_f64 v[82:83], v[108:109], s[14:15], v[82:83]
	v_add_f64 v[100:101], v[54:55], v[58:59]
	ds_read_b128 v[16:19], v110 offset:10400
	ds_read_b128 v[40:43], v110 offset:12400
	v_add_f64 v[92:93], v[92:93], v[94:95]
	v_add_f64 v[94:95], v[96:97], v[54:55]
	v_fma_f64 v[96:97], v[108:109], s[12:13], v[98:99]
	v_fma_f64 v[102:103], v[104:105], s[4:5], v[102:103]
	v_add_f64 v[106:107], v[106:107], v[111:112]
	v_fma_f64 v[82:83], v[104:105], s[12:13], v[82:83]
	v_add_f64 v[104:105], v[50:51], v[62:63]
	v_fma_f64 v[98:99], v[100:101], -0.5, v[38:39]
	v_add_f64 v[100:101], v[48:49], -v[60:61]
	v_add_f64 v[94:95], v[94:95], v[58:59]
	v_fma_f64 v[60:61], v[92:93], s[10:11], v[80:81]
	v_fma_f64 v[48:49], v[92:93], s[10:11], v[96:97]
	v_add_f64 v[92:93], v[52:53], -v[56:57]
	v_fma_f64 v[52:53], v[106:107], s[10:11], v[82:83]
	v_fma_f64 v[82:83], v[104:105], -0.5, v[38:39]
	ds_read_b128 v[64:67], v110 offset:16800
	ds_read_b128 v[44:47], v110 offset:18800
	;; [unrolled: 1-line block ×4, first 2 shown]
	v_fma_f64 v[80:81], v[100:101], s[6:7], v[98:99]
	v_fma_f64 v[56:57], v[106:107], s[10:11], v[102:103]
	v_add_f64 v[38:39], v[94:95], v[62:63]
	v_add_f64 v[94:95], v[50:51], -v[54:55]
	v_add_f64 v[96:97], v[62:63], -v[58:59]
	v_fma_f64 v[98:99], v[100:101], s[14:15], v[98:99]
	s_waitcnt lgkmcnt(5)
	v_add_f64 v[102:103], v[72:73], v[16:17]
	s_waitcnt lgkmcnt(1)
	v_add_f64 v[104:105], v[64:65], v[68:69]
	v_fma_f64 v[106:107], v[92:93], s[14:15], v[82:83]
	v_add_f64 v[50:51], v[54:55], -v[50:51]
	v_add_f64 v[54:55], v[58:59], -v[62:63]
	ds_read_b128 v[76:79], v110 offset:29600
	ds_read_b128 v[12:15], v110 offset:31600
	v_fma_f64 v[80:81], v[92:93], s[12:13], v[80:81]
	v_add_f64 v[58:59], v[94:95], v[96:97]
	v_fma_f64 v[94:95], v[92:93], s[4:5], v[98:99]
	v_fma_f64 v[82:83], v[92:93], s[6:7], v[82:83]
	v_add_f64 v[92:93], v[102:103], v[64:65]
	v_fma_f64 v[96:97], v[104:105], -0.5, v[72:73]
	s_waitcnt lgkmcnt(1)
	v_add_f64 v[98:99], v[18:19], -v[78:79]
	v_fma_f64 v[102:103], v[100:101], s[12:13], v[106:107]
	v_add_f64 v[54:55], v[50:51], v[54:55]
	v_fma_f64 v[62:63], v[58:59], s[10:11], v[80:81]
	v_fma_f64 v[50:51], v[58:59], s[10:11], v[94:95]
	;; [unrolled: 1-line block ×3, first 2 shown]
	v_add_f64 v[82:83], v[16:17], v[76:77]
	v_add_f64 v[92:93], v[92:93], v[68:69]
	v_fma_f64 v[94:95], v[98:99], s[14:15], v[96:97]
	v_add_f64 v[100:101], v[66:67], -v[70:71]
	v_fma_f64 v[58:59], v[54:55], s[10:11], v[102:103]
	v_add_f64 v[102:103], v[16:17], -v[64:65]
	v_add_f64 v[104:105], v[76:77], -v[68:69]
	v_fma_f64 v[96:97], v[98:99], s[6:7], v[96:97]
	v_fma_f64 v[82:83], v[82:83], -0.5, v[72:73]
	v_fma_f64 v[54:55], v[54:55], s[10:11], v[80:81]
	v_add_f64 v[72:73], v[92:93], v[76:77]
	v_fma_f64 v[80:81], v[100:101], s[4:5], v[94:95]
	v_add_f64 v[92:93], v[74:75], v[18:19]
	v_add_f64 v[94:95], v[66:67], v[70:71]
	;; [unrolled: 1-line block ×3, first 2 shown]
	v_fma_f64 v[96:97], v[100:101], s[12:13], v[96:97]
	v_fma_f64 v[104:105], v[100:101], s[6:7], v[82:83]
	v_add_f64 v[106:107], v[64:65], -v[16:17]
	v_add_f64 v[108:109], v[68:69], -v[76:77]
	v_fma_f64 v[82:83], v[100:101], s[14:15], v[82:83]
	v_add_f64 v[92:93], v[92:93], v[66:67]
	v_fma_f64 v[94:95], v[94:95], -0.5, v[74:75]
	v_add_f64 v[16:17], v[16:17], -v[76:77]
	v_fma_f64 v[80:81], v[102:103], s[10:11], v[80:81]
	v_fma_f64 v[76:77], v[102:103], s[10:11], v[96:97]
	v_add_f64 v[102:103], v[18:19], v[78:79]
	v_fma_f64 v[96:97], v[98:99], s[4:5], v[104:105]
	v_add_f64 v[100:101], v[106:107], v[108:109]
	;; [unrolled: 2-line block ×3, first 2 shown]
	v_fma_f64 v[98:99], v[16:17], s[6:7], v[94:95]
	v_add_f64 v[104:105], v[64:65], -v[68:69]
	v_add_f64 v[106:107], v[18:19], -v[66:67]
	v_add_f64 v[108:109], v[44:45], v[8:9]
	v_add_f64 v[111:112], v[78:79], -v[70:71]
	v_fma_f64 v[102:103], v[102:103], -0.5, v[74:75]
	v_fma_f64 v[68:69], v[100:101], s[10:11], v[96:97]
	v_fma_f64 v[64:65], v[100:101], s[10:11], v[82:83]
	v_add_f64 v[74:75], v[92:93], v[78:79]
	v_fma_f64 v[82:83], v[104:105], s[12:13], v[98:99]
	v_add_f64 v[92:93], v[0:1], v[40:41]
	v_fma_f64 v[96:97], v[108:109], -0.5, v[0:1]
	s_waitcnt lgkmcnt(0)
	v_add_f64 v[98:99], v[42:43], -v[14:15]
	v_add_f64 v[100:101], v[106:107], v[111:112]
	v_fma_f64 v[94:95], v[16:17], s[14:15], v[94:95]
	v_fma_f64 v[106:107], v[104:105], s[14:15], v[102:103]
	v_add_f64 v[18:19], v[66:67], -v[18:19]
	v_add_f64 v[66:67], v[70:71], -v[78:79]
	v_fma_f64 v[70:71], v[104:105], s[6:7], v[102:103]
	v_add_f64 v[78:79], v[92:93], v[44:45]
	v_fma_f64 v[92:93], v[98:99], s[14:15], v[96:97]
	v_add_f64 v[102:103], v[46:47], -v[10:11]
	v_add_f64 v[108:109], v[40:41], -v[44:45]
	;; [unrolled: 1-line block ×3, first 2 shown]
	v_fma_f64 v[94:95], v[104:105], s[4:5], v[94:95]
	v_add_f64 v[104:105], v[40:41], v[12:13]
	v_fma_f64 v[106:107], v[16:17], s[12:13], v[106:107]
	v_add_f64 v[18:19], v[18:19], v[66:67]
	;; [unrolled: 2-line block ×4, first 2 shown]
	v_fma_f64 v[82:83], v[100:101], s[10:11], v[82:83]
	v_fma_f64 v[104:105], v[104:105], -0.5, v[0:1]
	v_fma_f64 v[78:79], v[100:101], s[10:11], v[94:95]
	v_fma_f64 v[70:71], v[18:19], s[10:11], v[106:107]
	;; [unrolled: 1-line block ×3, first 2 shown]
	v_add_f64 v[18:19], v[46:47], v[10:11]
	v_add_f64 v[100:101], v[42:43], v[14:15]
	;; [unrolled: 1-line block ×3, first 2 shown]
	v_fma_f64 v[16:17], v[108:109], s[10:11], v[92:93]
	v_fma_f64 v[92:93], v[98:99], s[6:7], v[96:97]
	;; [unrolled: 1-line block ×3, first 2 shown]
	v_add_f64 v[96:97], v[44:45], -v[40:41]
	v_add_f64 v[106:107], v[8:9], -v[12:13]
	v_add_f64 v[111:112], v[2:3], v[42:43]
	v_fma_f64 v[18:19], v[18:19], -0.5, v[2:3]
	v_add_f64 v[12:13], v[40:41], -v[12:13]
	v_add_f64 v[8:9], v[44:45], -v[8:9]
	v_fma_f64 v[2:3], v[100:101], -0.5, v[2:3]
	v_fma_f64 v[40:41], v[102:103], s[12:13], v[92:93]
	v_fma_f64 v[92:93], v[98:99], s[4:5], v[94:95]
	v_add_f64 v[44:45], v[96:97], v[106:107]
	v_fma_f64 v[94:95], v[102:103], s[14:15], v[104:105]
	v_add_f64 v[96:97], v[111:112], v[46:47]
	v_fma_f64 v[100:101], v[12:13], s[6:7], v[18:19]
	v_add_f64 v[102:103], v[42:43], -v[46:47]
	v_add_f64 v[104:105], v[14:15], -v[10:11]
	v_fma_f64 v[18:19], v[12:13], s[14:15], v[18:19]
	v_fma_f64 v[106:107], v[8:9], s[14:15], v[2:3]
	v_add_f64 v[42:43], v[46:47], -v[42:43]
	v_add_f64 v[46:47], v[10:11], -v[14:15]
	v_fma_f64 v[2:3], v[8:9], s[6:7], v[2:3]
	v_fma_f64 v[94:95], v[98:99], s[12:13], v[94:95]
	v_add_f64 v[10:11], v[96:97], v[10:11]
	v_fma_f64 v[96:97], v[8:9], s[12:13], v[100:101]
	v_add_f64 v[98:99], v[102:103], v[104:105]
	v_fma_f64 v[100:101], v[8:9], s[4:5], v[18:19]
	v_fma_f64 v[102:103], v[12:13], s[12:13], v[106:107]
	v_add_f64 v[42:43], v[42:43], v[46:47]
	v_fma_f64 v[46:47], v[12:13], s[4:5], v[2:3]
	v_fma_f64 v[8:9], v[108:109], s[10:11], v[40:41]
	;; [unrolled: 1-line block ×4, first 2 shown]
	v_add_f64 v[2:3], v[10:11], v[14:15]
	v_fma_f64 v[18:19], v[98:99], s[10:11], v[96:97]
	v_fma_f64 v[10:11], v[98:99], s[10:11], v[100:101]
	;; [unrolled: 1-line block ×4, first 2 shown]
	s_movk_i32 s6, 0x50
	v_lshl_add_u32 v44, v84, 6, v110
	v_mad_i32_i24 v85, v88, s6, 0
	v_mad_i32_i24 v89, v91, s6, 0
	v_cmp_gt_u32_e32 vcc, 25, v84
	s_barrier
	ds_write_b128 v44, v[4:7]
	ds_write_b128 v44, v[32:35] offset:16
	ds_write_b128 v44, v[28:31] offset:32
	ds_write_b128 v44, v[24:27] offset:48
	ds_write_b128 v44, v[20:23] offset:64
	ds_write_b128 v85, v[36:39]
	ds_write_b128 v85, v[60:63] offset:16
	ds_write_b128 v85, v[56:59] offset:32
	ds_write_b128 v85, v[52:55] offset:48
	ds_write_b128 v85, v[48:51] offset:64
	ds_write_b128 v89, v[72:75]
	ds_write_b128 v89, v[80:83] offset:16
	ds_write_b128 v89, v[68:71] offset:32
	ds_write_b128 v89, v[64:67] offset:48
	ds_write_b128 v89, v[76:79] offset:64
	s_and_saveexec_b64 s[4:5], vcc
	s_cbranch_execz .LBB0_15
; %bb.14:
	v_mad_i32_i24 v4, v90, s6, 0
	ds_write_b128 v4, v[0:3]
	ds_write_b128 v4, v[16:19] offset:16
	ds_write_b128 v4, v[12:15] offset:32
	;; [unrolled: 1-line block ×4, first 2 shown]
.LBB0_15:
	s_or_b64 exec, exec, s[4:5]
	v_lshlrev_b32_e32 v92, 6, v88
	v_lshlrev_b32_e32 v93, 6, v91
	v_sub_u32_e32 v4, v85, v92
	v_sub_u32_e32 v5, v89, v93
	s_waitcnt lgkmcnt(0)
	s_barrier
	ds_read_b128 v[24:27], v110
	ds_read_b128 v[76:79], v110 offset:6400
	ds_read_b128 v[68:71], v110 offset:12800
	;; [unrolled: 1-line block ×5, first 2 shown]
	ds_read_b128 v[20:23], v4
	ds_read_b128 v[4:7], v5
	ds_read_b128 v[60:63], v110 offset:8400
	ds_read_b128 v[44:47], v110 offset:10400
	;; [unrolled: 1-line block ×7, first 2 shown]
	v_lshl_add_u32 v111, v90, 4, 0
	s_and_saveexec_b64 s[4:5], vcc
	s_cbranch_execz .LBB0_17
; %bb.16:
	ds_read_b128 v[0:3], v111
	ds_read_b128 v[16:19], v110 offset:12400
	ds_read_b128 v[12:15], v110 offset:18800
	;; [unrolled: 1-line block ×4, first 2 shown]
.LBB0_17:
	s_or_b64 exec, exec, s[4:5]
	s_movk_i32 s4, 0xcd
	v_mul_lo_u16_sdwa v80, v84, s4 dst_sel:DWORD dst_unused:UNUSED_PAD src0_sel:BYTE_0 src1_sel:DWORD
	v_lshrrev_b16_e32 v80, 10, v80
	v_mul_lo_u16_e32 v81, 5, v80
	v_sub_u16_e32 v81, v84, v81
	v_mov_b32_e32 v112, 6
	v_lshlrev_b32_sdwa v82, v112, v81 dst_sel:DWORD dst_unused:UNUSED_PAD src0_sel:DWORD src1_sel:BYTE_0
	global_load_dwordx4 v[94:97], v82, s[8:9]
	global_load_dwordx4 v[98:101], v82, s[8:9] offset:16
	global_load_dwordx4 v[102:105], v82, s[8:9] offset:32
	global_load_dwordx4 v[106:109], v82, s[8:9] offset:48
	v_mul_lo_u16_sdwa v82, v88, s4 dst_sel:DWORD dst_unused:UNUSED_PAD src0_sel:BYTE_0 src1_sel:DWORD
	v_lshrrev_b16_e32 v82, 10, v82
	v_mul_lo_u16_e32 v83, 5, v82
	v_sub_u16_e32 v83, v88, v83
	v_lshlrev_b32_sdwa v126, v112, v83 dst_sel:DWORD dst_unused:UNUSED_PAD src0_sel:DWORD src1_sel:BYTE_0
	global_load_dwordx4 v[112:115], v126, s[8:9]
	global_load_dwordx4 v[116:119], v126, s[8:9] offset:16
	s_mov_b32 s4, 0xcccd
	s_mov_b32 s6, 0x134454ff
	;; [unrolled: 1-line block ×6, first 2 shown]
	s_waitcnt vmcnt(5) lgkmcnt(13)
	v_mul_f64 v[120:121], v[78:79], v[96:97]
	v_mul_f64 v[96:97], v[76:77], v[96:97]
	v_fma_f64 v[120:121], v[76:77], v[94:95], v[120:121]
	v_fma_f64 v[122:123], v[78:79], v[94:95], -v[96:97]
	s_waitcnt vmcnt(4) lgkmcnt(12)
	v_mul_f64 v[76:77], v[70:71], v[100:101]
	v_mul_f64 v[78:79], v[68:69], v[100:101]
	s_waitcnt vmcnt(3) lgkmcnt(4)
	v_mul_f64 v[94:95], v[74:75], v[104:105]
	v_mul_f64 v[96:97], v[72:73], v[104:105]
	s_waitcnt vmcnt(2)
	v_mul_f64 v[104:105], v[66:67], v[108:109]
	v_mul_f64 v[108:109], v[64:65], v[108:109]
	v_fma_f64 v[100:101], v[68:69], v[98:99], v[76:77]
	v_fma_f64 v[98:99], v[70:71], v[98:99], -v[78:79]
	global_load_dwordx4 v[76:79], v126, s[8:9] offset:32
	v_fma_f64 v[124:125], v[72:73], v[102:103], v[94:95]
	global_load_dwordx4 v[70:73], v126, s[8:9] offset:48
	v_mul_u32_u24_sdwa v68, v91, s4 dst_sel:DWORD dst_unused:UNUSED_PAD src0_sel:WORD_0 src1_sel:DWORD
	v_lshrrev_b32_e32 v68, 18, v68
	v_mul_lo_u16_e32 v69, 5, v68
	v_sub_u16_e32 v69, v91, v69
	v_lshlrev_b32_e32 v126, 6, v69
	v_fma_f64 v[74:75], v[74:75], v[102:103], -v[96:97]
	s_waitcnt vmcnt(3)
	v_mul_f64 v[94:95], v[62:63], v[114:115]
	v_mul_f64 v[96:97], v[60:61], v[114:115]
	v_fma_f64 v[102:103], v[64:65], v[106:107], v[104:105]
	v_fma_f64 v[104:105], v[66:67], v[106:107], -v[108:109]
	global_load_dwordx4 v[64:67], v126, s[8:9]
	s_waitcnt vmcnt(3)
	v_mul_f64 v[106:107], v[54:55], v[118:119]
	v_fma_f64 v[108:109], v[60:61], v[112:113], v[94:95]
	v_fma_f64 v[112:113], v[62:63], v[112:113], -v[96:97]
	global_load_dwordx4 v[60:63], v126, s[8:9] offset:16
	v_mul_f64 v[94:95], v[52:53], v[118:119]
	v_fma_f64 v[106:107], v[52:53], v[116:117], v[106:107]
	v_fma_f64 v[114:115], v[54:55], v[116:117], -v[94:95]
	global_load_dwordx4 v[94:97], v126, s[8:9] offset:32
	s_waitcnt vmcnt(4) lgkmcnt(2)
	v_mul_f64 v[52:53], v[58:59], v[78:79]
	v_mul_f64 v[54:55], v[56:57], v[78:79]
	s_waitcnt vmcnt(3)
	v_mul_f64 v[78:79], v[50:51], v[72:73]
	v_fma_f64 v[116:117], v[56:57], v[76:77], v[52:53]
	v_fma_f64 v[76:77], v[58:59], v[76:77], -v[54:55]
	v_mul_f64 v[53:54], v[48:49], v[72:73]
	v_fma_f64 v[72:73], v[48:49], v[70:71], v[78:79]
	v_mul_u32_u24_sdwa v52, v90, s4 dst_sel:DWORD dst_unused:UNUSED_PAD src0_sel:WORD_0 src1_sel:DWORD
	s_waitcnt vmcnt(2)
	v_mul_f64 v[57:58], v[46:47], v[66:67]
	v_mul_f64 v[66:67], v[44:45], v[66:67]
	v_lshrrev_b32_e32 v52, 18, v52
	v_mul_lo_u16_e32 v59, 5, v52
	v_sub_u16_e32 v48, v90, v59
	v_fma_f64 v[49:50], v[50:51], v[70:71], -v[53:54]
	global_load_dwordx4 v[53:56], v126, s[8:9] offset:48
	v_lshlrev_b32_e32 v51, 6, v48
	v_fma_f64 v[78:79], v[44:45], v[64:65], v[57:58]
	v_fma_f64 v[65:66], v[46:47], v[64:65], -v[66:67]
	global_load_dwordx4 v[44:47], v51, s[8:9]
	s_waitcnt vmcnt(3)
	v_mul_f64 v[70:71], v[38:39], v[62:63]
	v_mul_f64 v[62:63], v[36:37], v[62:63]
	s_mov_b32 s4, 0x4755a5e
	s_mov_b32 s5, 0xbfe2cf23
	;; [unrolled: 1-line block ×3, first 2 shown]
	s_waitcnt vmcnt(2) lgkmcnt(1)
	v_mul_f64 v[118:119], v[34:35], v[96:97]
	v_mul_f64 v[96:97], v[32:33], v[96:97]
	v_fma_f64 v[126:127], v[36:37], v[60:61], v[70:71]
	v_fma_f64 v[128:129], v[38:39], v[60:61], -v[62:63]
	global_load_dwordx4 v[36:39], v51, s[8:9] offset:16
	global_load_dwordx4 v[57:60], v51, s[8:9] offset:32
	;; [unrolled: 1-line block ×3, first 2 shown]
	s_waitcnt lgkmcnt(0)
	v_fma_f64 v[118:119], v[32:33], v[94:95], v[118:119]
	v_fma_f64 v[94:95], v[34:35], v[94:95], -v[96:97]
	v_sub_u32_e32 v33, 0, v92
	v_sub_u32_e32 v32, 0, v93
	v_add_f64 v[96:97], v[112:113], -v[49:50]
	s_waitcnt vmcnt(0)
	s_barrier
	v_mul_f64 v[34:35], v[30:31], v[55:56]
	v_mul_f64 v[55:56], v[28:29], v[55:56]
	;; [unrolled: 1-line block ×3, first 2 shown]
	v_fma_f64 v[92:93], v[28:29], v[53:54], v[34:35]
	v_mul_f64 v[28:29], v[16:17], v[46:47]
	v_fma_f64 v[130:131], v[30:31], v[53:54], -v[55:56]
	v_fma_f64 v[16:17], v[16:17], v[44:45], v[70:71]
	v_add_f64 v[70:71], v[74:75], -v[104:105]
	v_mul_f64 v[30:31], v[14:15], v[38:39]
	v_mul_f64 v[34:35], v[12:13], v[38:39]
	;; [unrolled: 1-line block ×3, first 2 shown]
	v_fma_f64 v[18:19], v[18:19], v[44:45], -v[28:29]
	v_add_f64 v[28:29], v[24:25], v[120:121]
	v_add_f64 v[44:45], v[100:101], v[124:125]
	v_mul_f64 v[38:39], v[42:43], v[59:60]
	v_mul_f64 v[53:54], v[10:11], v[63:64]
	v_fma_f64 v[12:13], v[12:13], v[36:37], v[30:31]
	v_fma_f64 v[14:15], v[14:15], v[36:37], -v[34:35]
	v_add_f64 v[34:35], v[122:123], -v[104:105]
	v_fma_f64 v[46:47], v[42:43], v[57:58], -v[46:47]
	v_add_f64 v[28:29], v[28:29], v[100:101]
	v_fma_f64 v[36:37], v[44:45], -0.5, v[24:25]
	v_add_f64 v[42:43], v[120:121], v[102:103]
	v_mul_f64 v[30:31], v[8:9], v[63:64]
	v_fma_f64 v[132:133], v[40:41], v[57:58], v[38:39]
	v_add_f64 v[38:39], v[98:99], -v[74:75]
	v_add_f64 v[40:41], v[120:121], -v[100:101]
	;; [unrolled: 1-line block ×3, first 2 shown]
	v_add_f64 v[28:29], v[28:29], v[124:125]
	v_fma_f64 v[55:56], v[34:35], s[6:7], v[36:37]
	v_fma_f64 v[42:43], v[42:43], -0.5, v[24:25]
	v_fma_f64 v[8:9], v[8:9], v[61:62], v[53:54]
	v_fma_f64 v[10:11], v[10:11], v[61:62], -v[30:31]
	v_fma_f64 v[36:37], v[34:35], s[12:13], v[36:37]
	v_add_f64 v[53:54], v[100:101], -v[120:121]
	v_add_f64 v[30:31], v[40:41], v[44:45]
	v_add_f64 v[24:25], v[28:29], v[102:103]
	v_fma_f64 v[28:29], v[38:39], s[4:5], v[55:56]
	v_add_f64 v[40:41], v[26:27], v[122:123]
	v_fma_f64 v[44:45], v[38:39], s[12:13], v[42:43]
	v_add_f64 v[55:56], v[124:125], -v[102:103]
	v_fma_f64 v[42:43], v[38:39], s[6:7], v[42:43]
	v_add_f64 v[57:58], v[98:99], v[74:75]
	v_fma_f64 v[36:37], v[38:39], s[14:15], v[36:37]
	v_add_f64 v[59:60], v[104:105], -v[74:75]
	v_fma_f64 v[28:29], v[30:31], s[10:11], v[28:29]
	v_add_f64 v[40:41], v[40:41], v[98:99]
	v_fma_f64 v[38:39], v[34:35], s[4:5], v[44:45]
	v_add_f64 v[44:45], v[53:54], v[55:56]
	;; [unrolled: 2-line block ×3, first 2 shown]
	v_fma_f64 v[55:56], v[57:58], -0.5, v[26:27]
	v_add_f64 v[57:58], v[120:121], -v[102:103]
	v_fma_f64 v[34:35], v[30:31], s[10:11], v[36:37]
	v_add_f64 v[40:41], v[40:41], v[74:75]
	v_add_f64 v[30:31], v[100:101], -v[124:125]
	v_fma_f64 v[38:39], v[44:45], s[10:11], v[38:39]
	v_fma_f64 v[42:43], v[44:45], s[10:11], v[42:43]
	v_fma_f64 v[36:37], v[53:54], -0.5, v[26:27]
	v_add_f64 v[44:45], v[20:21], v[108:109]
	v_add_f64 v[53:54], v[122:123], -v[98:99]
	v_add_f64 v[63:64], v[98:99], -v[122:123]
	v_add_f64 v[26:27], v[40:41], v[104:105]
	v_fma_f64 v[40:41], v[57:58], s[12:13], v[55:56]
	v_fma_f64 v[55:56], v[57:58], s[6:7], v[55:56]
	v_add_f64 v[74:75], v[106:107], v[116:117]
	v_fma_f64 v[61:62], v[30:31], s[6:7], v[36:37]
	v_add_f64 v[44:45], v[44:45], v[106:107]
	;; [unrolled: 2-line block ×3, first 2 shown]
	v_add_f64 v[100:101], v[106:107], -v[108:109]
	v_fma_f64 v[40:41], v[30:31], s[14:15], v[40:41]
	v_fma_f64 v[55:56], v[30:31], s[4:5], v[55:56]
	v_fma_f64 v[74:75], v[74:75], -0.5, v[20:21]
	v_fma_f64 v[59:60], v[57:58], s[14:15], v[61:62]
	v_add_f64 v[61:62], v[63:64], v[70:71]
	v_add_f64 v[63:64], v[44:45], v[116:117]
	;; [unrolled: 1-line block ×3, first 2 shown]
	v_fma_f64 v[57:58], v[57:58], s[4:5], v[36:37]
	v_fma_f64 v[30:31], v[53:54], s[10:11], v[40:41]
	;; [unrolled: 1-line block ×3, first 2 shown]
	v_add_f64 v[53:54], v[114:115], -v[76:77]
	v_add_f64 v[102:103], v[108:109], -v[72:73]
	v_fma_f64 v[40:41], v[61:62], s[10:11], v[59:60]
	v_add_f64 v[59:60], v[108:109], -v[106:107]
	v_fma_f64 v[55:56], v[70:71], -0.5, v[20:21]
	v_add_f64 v[20:21], v[63:64], v[72:73]
	v_add_f64 v[63:64], v[22:23], v[112:113]
	;; [unrolled: 1-line block ×3, first 2 shown]
	v_fma_f64 v[44:45], v[61:62], s[10:11], v[57:58]
	v_fma_f64 v[57:58], v[96:97], s[6:7], v[74:75]
	v_add_f64 v[61:62], v[72:73], -v[116:117]
	v_fma_f64 v[74:75], v[96:97], s[12:13], v[74:75]
	v_fma_f64 v[98:99], v[53:54], s[12:13], v[55:56]
	v_add_f64 v[72:73], v[116:117], -v[72:73]
	v_add_f64 v[63:64], v[63:64], v[114:115]
	v_fma_f64 v[70:71], v[70:71], -0.5, v[22:23]
	v_fma_f64 v[55:56], v[53:54], s[6:7], v[55:56]
	v_fma_f64 v[57:58], v[53:54], s[4:5], v[57:58]
	v_add_f64 v[59:60], v[59:60], v[61:62]
	v_fma_f64 v[61:62], v[53:54], s[14:15], v[74:75]
	v_fma_f64 v[74:75], v[96:97], s[4:5], v[98:99]
	v_add_f64 v[98:99], v[112:113], v[49:50]
	v_add_f64 v[72:73], v[100:101], v[72:73]
	;; [unrolled: 1-line block ×3, first 2 shown]
	v_fma_f64 v[100:101], v[102:103], s[12:13], v[70:71]
	v_add_f64 v[104:105], v[106:107], -v[116:117]
	v_add_f64 v[106:107], v[112:113], -v[114:115]
	;; [unrolled: 1-line block ×3, first 2 shown]
	v_fma_f64 v[53:54], v[59:60], s[10:11], v[57:58]
	v_fma_f64 v[98:99], v[98:99], -0.5, v[22:23]
	v_fma_f64 v[57:58], v[59:60], s[10:11], v[61:62]
	v_fma_f64 v[61:62], v[72:73], s[10:11], v[74:75]
	;; [unrolled: 1-line block ×3, first 2 shown]
	v_add_f64 v[22:23], v[63:64], v[49:50]
	v_fma_f64 v[59:60], v[104:105], s[14:15], v[100:101]
	v_add_f64 v[63:64], v[126:127], v[118:119]
	v_add_f64 v[74:75], v[106:107], v[108:109]
	v_fma_f64 v[96:97], v[102:103], s[6:7], v[70:71]
	v_fma_f64 v[100:101], v[104:105], s[6:7], v[98:99]
	v_add_f64 v[106:107], v[114:115], -v[112:113]
	v_add_f64 v[49:50], v[76:77], -v[49:50]
	v_fma_f64 v[76:77], v[104:105], s[12:13], v[98:99]
	v_add_f64 v[98:99], v[4:5], v[78:79]
	v_fma_f64 v[108:109], v[63:64], -0.5, v[4:5]
	v_add_f64 v[112:113], v[65:66], -v[130:131]
	v_fma_f64 v[70:71], v[72:73], s[10:11], v[55:56]
	v_fma_f64 v[55:56], v[74:75], s[10:11], v[59:60]
	;; [unrolled: 1-line block ×4, first 2 shown]
	v_add_f64 v[49:50], v[106:107], v[49:50]
	v_fma_f64 v[72:73], v[102:103], s[4:5], v[76:77]
	v_add_f64 v[76:77], v[98:99], v[126:127]
	v_fma_f64 v[96:97], v[112:113], s[6:7], v[108:109]
	v_add_f64 v[98:99], v[128:129], -v[94:95]
	v_add_f64 v[100:101], v[78:79], v[92:93]
	v_fma_f64 v[59:60], v[74:75], s[10:11], v[59:60]
	v_add_f64 v[74:75], v[78:79], -v[126:127]
	v_add_f64 v[102:103], v[92:93], -v[118:119]
	v_fma_f64 v[63:64], v[49:50], s[10:11], v[63:64]
	v_fma_f64 v[72:73], v[49:50], s[10:11], v[72:73]
	v_add_f64 v[49:50], v[76:77], v[118:119]
	v_fma_f64 v[76:77], v[98:99], s[4:5], v[96:97]
	v_fma_f64 v[4:5], v[100:101], -0.5, v[4:5]
	v_add_f64 v[96:97], v[6:7], v[65:66]
	v_add_f64 v[100:101], v[128:129], v[94:95]
	;; [unrolled: 1-line block ×3, first 2 shown]
	v_add_f64 v[104:105], v[126:127], -v[78:79]
	v_add_f64 v[106:107], v[118:119], -v[92:93]
	v_add_f64 v[74:75], v[49:50], v[92:93]
	v_fma_f64 v[49:50], v[112:113], s[12:13], v[108:109]
	v_fma_f64 v[108:109], v[98:99], s[12:13], v[4:5]
	v_add_f64 v[96:97], v[96:97], v[128:129]
	v_fma_f64 v[114:115], v[100:101], -0.5, v[6:7]
	v_add_f64 v[78:79], v[78:79], -v[92:93]
	v_fma_f64 v[92:93], v[102:103], s[10:11], v[76:77]
	v_add_f64 v[76:77], v[65:66], v[130:131]
	v_add_f64 v[104:105], v[104:105], v[106:107]
	v_fma_f64 v[49:50], v[98:99], s[14:15], v[49:50]
	v_fma_f64 v[100:101], v[112:113], s[4:5], v[108:109]
	v_fma_f64 v[4:5], v[98:99], s[6:7], v[4:5]
	v_add_f64 v[98:99], v[96:97], v[94:95]
	v_fma_f64 v[106:107], v[78:79], s[12:13], v[114:115]
	v_add_f64 v[108:109], v[126:127], -v[118:119]
	v_add_f64 v[116:117], v[65:66], -v[128:129]
	v_fma_f64 v[6:7], v[76:77], -0.5, v[6:7]
	v_add_f64 v[118:119], v[130:131], -v[94:95]
	v_fma_f64 v[96:97], v[102:103], s[10:11], v[49:50]
	v_fma_f64 v[4:5], v[112:113], s[14:15], v[4:5]
	v_add_f64 v[76:77], v[98:99], v[130:131]
	v_add_f64 v[98:99], v[0:1], v[16:17]
	v_fma_f64 v[49:50], v[108:109], s[14:15], v[106:107]
	v_add_f64 v[102:103], v[12:13], v[132:133]
	v_fma_f64 v[112:113], v[78:79], s[6:7], v[114:115]
	;; [unrolled: 2-line block ×3, first 2 shown]
	v_add_f64 v[65:66], v[128:129], -v[65:66]
	v_add_f64 v[116:117], v[94:95], -v[130:131]
	v_fma_f64 v[6:7], v[108:109], s[12:13], v[6:7]
	v_add_f64 v[98:99], v[98:99], v[12:13]
	v_fma_f64 v[118:119], v[102:103], -0.5, v[0:1]
	v_add_f64 v[120:121], v[18:19], -v[10:11]
	v_fma_f64 v[94:95], v[106:107], s[10:11], v[49:50]
	v_fma_f64 v[49:50], v[108:109], s[4:5], v[112:113]
	v_fma_f64 v[102:103], v[78:79], s[14:15], v[114:115]
	v_add_f64 v[65:66], v[65:66], v[116:117]
	v_fma_f64 v[6:7], v[78:79], s[4:5], v[6:7]
	v_add_f64 v[78:79], v[16:17], v[8:9]
	v_add_f64 v[108:109], v[98:99], v[132:133]
	v_fma_f64 v[112:113], v[120:121], s[6:7], v[118:119]
	v_add_f64 v[114:115], v[14:15], -v[46:47]
	v_add_f64 v[116:117], v[16:17], -v[12:13]
	;; [unrolled: 1-line block ×3, first 2 shown]
	v_fma_f64 v[98:99], v[106:107], s[10:11], v[49:50]
	v_fma_f64 v[102:103], v[65:66], s[10:11], v[102:103]
	v_fma_f64 v[49:50], v[78:79], -0.5, v[0:1]
	v_fma_f64 v[106:107], v[65:66], s[10:11], v[6:7]
	v_add_f64 v[65:66], v[14:15], v[46:47]
	v_fma_f64 v[78:79], v[120:121], s[12:13], v[118:119]
	v_add_f64 v[118:119], v[18:19], v[10:11]
	v_fma_f64 v[100:101], v[104:105], s[10:11], v[100:101]
	v_fma_f64 v[104:105], v[104:105], s[10:11], v[4:5]
	v_add_f64 v[0:1], v[108:109], v[8:9]
	v_fma_f64 v[4:5], v[114:115], s[4:5], v[112:113]
	v_add_f64 v[6:7], v[116:117], v[122:123]
	v_add_f64 v[112:113], v[12:13], -v[16:17]
	v_add_f64 v[116:117], v[132:133], -v[8:9]
	;; [unrolled: 1-line block ×3, first 2 shown]
	v_add_f64 v[16:17], v[2:3], v[18:19]
	v_fma_f64 v[65:66], v[65:66], -0.5, v[2:3]
	v_add_f64 v[12:13], v[12:13], -v[132:133]
	v_fma_f64 v[2:3], v[118:119], -0.5, v[2:3]
	v_fma_f64 v[108:109], v[114:115], s[12:13], v[49:50]
	v_fma_f64 v[78:79], v[114:115], s[14:15], v[78:79]
	v_add_f64 v[112:113], v[112:113], v[116:117]
	v_fma_f64 v[49:50], v[114:115], s[6:7], v[49:50]
	v_add_f64 v[16:17], v[16:17], v[14:15]
	v_fma_f64 v[114:115], v[8:9], s[12:13], v[65:66]
	v_add_f64 v[116:117], v[18:19], -v[14:15]
	v_add_f64 v[118:119], v[10:11], -v[46:47]
	v_fma_f64 v[65:66], v[8:9], s[6:7], v[65:66]
	v_fma_f64 v[122:123], v[12:13], s[6:7], v[2:3]
	v_add_f64 v[14:15], v[14:15], -v[18:19]
	v_add_f64 v[18:19], v[46:47], -v[10:11]
	v_fma_f64 v[2:3], v[12:13], s[12:13], v[2:3]
	v_fma_f64 v[108:109], v[120:121], s[4:5], v[108:109]
	;; [unrolled: 1-line block ×3, first 2 shown]
	v_add_f64 v[46:47], v[16:17], v[46:47]
	v_fma_f64 v[114:115], v[12:13], s[14:15], v[114:115]
	v_add_f64 v[116:117], v[116:117], v[118:119]
	v_fma_f64 v[65:66], v[12:13], s[4:5], v[65:66]
	v_fma_f64 v[118:119], v[8:9], s[14:15], v[122:123]
	v_add_f64 v[14:15], v[14:15], v[18:19]
	v_fma_f64 v[120:121], v[8:9], s[4:5], v[2:3]
	v_fma_f64 v[4:5], v[6:7], s[10:11], v[4:5]
	;; [unrolled: 1-line block ×5, first 2 shown]
	v_add_f64 v[2:3], v[46:47], v[10:11]
	v_fma_f64 v[6:7], v[116:117], s[10:11], v[114:115]
	v_fma_f64 v[18:19], v[116:117], s[10:11], v[65:66]
	;; [unrolled: 1-line block ×4, first 2 shown]
	v_mov_b32_e32 v47, 4
	v_mul_u32_u24_e32 v46, 0x190, v80
	v_lshlrev_b32_sdwa v49, v47, v81 dst_sel:DWORD dst_unused:UNUSED_PAD src0_sel:DWORD src1_sel:BYTE_0
	v_add3_u32 v46, 0, v46, v49
	ds_write_b128 v46, v[24:27]
	ds_write_b128 v46, v[28:31] offset:80
	ds_write_b128 v46, v[38:41] offset:160
	;; [unrolled: 1-line block ×4, first 2 shown]
	v_mul_u32_u24_e32 v24, 0x190, v82
	v_lshlrev_b32_sdwa v25, v47, v83 dst_sel:DWORD dst_unused:UNUSED_PAD src0_sel:DWORD src1_sel:BYTE_0
	v_add3_u32 v24, 0, v24, v25
	ds_write_b128 v24, v[20:23]
	ds_write_b128 v24, v[53:56] offset:80
	ds_write_b128 v24, v[61:64] offset:160
	;; [unrolled: 1-line block ×4, first 2 shown]
	v_mul_u32_u24_e32 v20, 0x190, v68
	v_lshlrev_b32_e32 v21, 4, v69
	v_add3_u32 v20, 0, v20, v21
	ds_write_b128 v20, v[74:77]
	ds_write_b128 v20, v[92:95] offset:80
	ds_write_b128 v20, v[100:103] offset:160
	;; [unrolled: 1-line block ×4, first 2 shown]
	s_and_saveexec_b64 s[4:5], vcc
	s_cbranch_execz .LBB0_19
; %bb.18:
	v_mul_lo_u16_e32 v20, 25, v52
	v_lshlrev_b32_e32 v21, 4, v48
	v_lshlrev_b32_e32 v20, 4, v20
	v_add3_u32 v20, 0, v21, v20
	ds_write_b128 v20, v[0:3]
	ds_write_b128 v20, v[4:7] offset:80
	ds_write_b128 v20, v[8:11] offset:160
	;; [unrolled: 1-line block ×4, first 2 shown]
.LBB0_19:
	s_or_b64 exec, exec, s[4:5]
	v_add_u32_e32 v113, v85, v33
	s_waitcnt lgkmcnt(0)
	s_barrier
	ds_read_b128 v[34:37], v110
	ds_read_b128 v[70:73], v110 offset:6400
	ds_read_b128 v[74:77], v110 offset:12800
	;; [unrolled: 1-line block ×5, first 2 shown]
	v_add_u32_e32 v112, v89, v32
	ds_read_b128 v[24:27], v113
	ds_read_b128 v[20:23], v112
	ds_read_b128 v[62:65], v110 offset:8400
	ds_read_b128 v[46:49], v110 offset:10400
	;; [unrolled: 1-line block ×7, first 2 shown]
	s_and_saveexec_b64 s[4:5], vcc
	s_cbranch_execz .LBB0_21
; %bb.20:
	ds_read_b128 v[0:3], v111
	ds_read_b128 v[4:7], v110 offset:12400
	ds_read_b128 v[8:11], v110 offset:18800
	;; [unrolled: 1-line block ×4, first 2 shown]
.LBB0_21:
	s_or_b64 exec, exec, s[4:5]
	v_mov_b32_e32 v82, 41
	v_mul_lo_u16_sdwa v32, v84, v82 dst_sel:DWORD dst_unused:UNUSED_PAD src0_sel:BYTE_0 src1_sel:DWORD
	v_lshrrev_b16_e32 v85, 10, v32
	v_mul_lo_u16_e32 v32, 25, v85
	v_sub_u16_e32 v89, v84, v32
	v_mov_b32_e32 v83, 6
	v_lshlrev_b32_sdwa v32, v83, v89 dst_sel:DWORD dst_unused:UNUSED_PAD src0_sel:DWORD src1_sel:BYTE_0
	global_load_dwordx4 v[92:95], v32, s[8:9] offset:368
	global_load_dwordx4 v[102:105], v32, s[8:9] offset:352
	;; [unrolled: 1-line block ×4, first 2 shown]
	s_movk_i32 s18, 0x47af
	s_mov_b32 s4, 0x134454ff
	s_mov_b32 s5, 0xbfee6f0e
	;; [unrolled: 1-line block ×8, first 2 shown]
	s_waitcnt vmcnt(0) lgkmcnt(13)
	v_mul_f64 v[32:33], v[72:73], v[98:99]
	v_fma_f64 v[106:107], v[70:71], v[96:97], v[32:33]
	v_mul_f64 v[32:33], v[70:71], v[98:99]
	v_fma_f64 v[98:99], v[72:73], v[96:97], -v[32:33]
	s_waitcnt lgkmcnt(12)
	v_mul_f64 v[32:33], v[76:77], v[116:117]
	v_fma_f64 v[108:109], v[74:75], v[114:115], v[32:33]
	v_mul_f64 v[32:33], v[74:75], v[116:117]
	v_fma_f64 v[100:101], v[76:77], v[114:115], -v[32:33]
	s_waitcnt lgkmcnt(4)
	v_mul_f64 v[32:33], v[80:81], v[104:105]
	v_fma_f64 v[118:119], v[78:79], v[102:103], v[32:33]
	v_mul_f64 v[32:33], v[78:79], v[104:105]
	v_fma_f64 v[102:103], v[80:81], v[102:103], -v[32:33]
	v_mul_f64 v[32:33], v[68:69], v[94:95]
	v_fma_f64 v[120:121], v[66:67], v[92:93], v[32:33]
	v_mul_f64 v[32:33], v[66:67], v[94:95]
	v_fma_f64 v[104:105], v[68:69], v[92:93], -v[32:33]
	v_mul_lo_u16_sdwa v32, v88, v82 dst_sel:DWORD dst_unused:UNUSED_PAD src0_sel:BYTE_0 src1_sel:DWORD
	v_lshrrev_b16_e32 v114, 10, v32
	v_mul_lo_u16_e32 v32, 25, v114
	v_sub_u16_e32 v115, v88, v32
	v_lshlrev_b32_sdwa v32, v83, v115 dst_sel:DWORD dst_unused:UNUSED_PAD src0_sel:DWORD src1_sel:BYTE_0
	global_load_dwordx4 v[66:69], v32, s[8:9] offset:368
	global_load_dwordx4 v[70:73], v32, s[8:9] offset:352
	;; [unrolled: 1-line block ×4, first 2 shown]
	s_waitcnt vmcnt(0)
	v_mul_f64 v[32:33], v[64:65], v[80:81]
	v_fma_f64 v[94:95], v[62:63], v[78:79], v[32:33]
	v_mul_f64 v[32:33], v[62:63], v[80:81]
	v_fma_f64 v[78:79], v[64:65], v[78:79], -v[32:33]
	v_mul_f64 v[32:33], v[56:57], v[76:77]
	v_fma_f64 v[96:97], v[54:55], v[74:75], v[32:33]
	v_mul_f64 v[32:33], v[54:55], v[76:77]
	v_add_f64 v[54:55], v[102:103], -v[104:105]
	v_fma_f64 v[80:81], v[56:57], v[74:75], -v[32:33]
	s_waitcnt lgkmcnt(2)
	v_mul_f64 v[32:33], v[60:61], v[72:73]
	v_fma_f64 v[56:57], v[58:59], v[70:71], v[32:33]
	v_mul_f64 v[32:33], v[58:59], v[72:73]
	v_add_f64 v[58:59], v[94:95], -v[96:97]
	v_fma_f64 v[82:83], v[60:61], v[70:71], -v[32:33]
	v_mul_f64 v[32:33], v[52:53], v[68:69]
	v_fma_f64 v[60:61], v[50:51], v[66:67], v[32:33]
	v_mul_f64 v[32:33], v[50:51], v[68:69]
	v_fma_f64 v[92:93], v[52:53], v[66:67], -v[32:33]
	v_mul_u32_u24_sdwa v32, v91, s18 dst_sel:DWORD dst_unused:UNUSED_PAD src0_sel:WORD_0 src1_sel:DWORD
	v_sub_u16_sdwa v33, v91, v32 dst_sel:DWORD dst_unused:UNUSED_PAD src0_sel:DWORD src1_sel:WORD_1
	v_lshrrev_b16_e32 v33, 1, v33
	v_add_u16_sdwa v32, v33, v32 dst_sel:DWORD dst_unused:UNUSED_PAD src0_sel:DWORD src1_sel:WORD_1
	v_lshrrev_b16_e32 v116, 4, v32
	v_mul_lo_u16_e32 v32, 25, v116
	v_sub_u16_e32 v117, v91, v32
	v_lshlrev_b32_e32 v32, 6, v117
	global_load_dwordx4 v[50:53], v32, s[8:9] offset:368
	global_load_dwordx4 v[66:69], v32, s[8:9] offset:352
	;; [unrolled: 1-line block ×4, first 2 shown]
	s_waitcnt vmcnt(0) lgkmcnt(0)
	s_barrier
	v_mul_f64 v[32:33], v[48:49], v[64:65]
	v_fma_f64 v[70:71], v[46:47], v[62:63], v[32:33]
	v_mul_f64 v[32:33], v[46:47], v[64:65]
	v_add_f64 v[46:47], v[118:119], -v[120:121]
	v_fma_f64 v[62:63], v[48:49], v[62:63], -v[32:33]
	v_mul_f64 v[32:33], v[44:45], v[76:77]
	v_add_f64 v[48:49], v[98:99], -v[100:101]
	v_fma_f64 v[72:73], v[42:43], v[74:75], v[32:33]
	v_mul_f64 v[32:33], v[42:43], v[76:77]
	v_add_f64 v[42:43], v[100:101], -v[102:103]
	v_fma_f64 v[64:65], v[44:45], v[74:75], -v[32:33]
	v_mul_f64 v[32:33], v[40:41], v[68:69]
	v_add_f64 v[44:45], v[120:121], -v[118:119]
	;; [unrolled: 6-line block ×3, first 2 shown]
	v_add_f64 v[38:39], v[38:39], v[44:45]
	v_add_f64 v[44:45], v[108:109], -v[106:107]
	v_fma_f64 v[76:77], v[28:29], v[50:51], v[32:33]
	v_mul_f64 v[28:29], v[28:29], v[52:53]
	v_add_f64 v[52:53], v[104:105], -v[102:103]
	v_add_f64 v[44:45], v[44:45], v[46:47]
	v_fma_f64 v[68:69], v[30:31], v[50:51], -v[28:29]
	v_add_f64 v[30:31], v[108:109], v[118:119]
	v_add_f64 v[28:29], v[34:35], v[106:107]
	v_add_f64 v[50:51], v[108:109], -v[118:119]
	v_add_f64 v[48:49], v[48:49], v[52:53]
	v_add_f64 v[52:53], v[100:101], -v[98:99]
	v_fma_f64 v[30:31], v[30:31], -0.5, v[34:35]
	v_add_f64 v[28:29], v[28:29], v[108:109]
	v_add_f64 v[52:53], v[52:53], v[54:55]
	v_fma_f64 v[32:33], v[40:41], s[4:5], v[30:31]
	v_fma_f64 v[30:31], v[40:41], s[14:15], v[30:31]
	v_add_f64 v[28:29], v[28:29], v[118:119]
	v_fma_f64 v[32:33], v[42:43], s[6:7], v[32:33]
	v_fma_f64 v[30:31], v[42:43], s[12:13], v[30:31]
	;; [unrolled: 3-line block ×3, first 2 shown]
	v_add_f64 v[30:31], v[106:107], v[120:121]
	v_fma_f64 v[30:31], v[30:31], -0.5, v[34:35]
	v_fma_f64 v[34:35], v[42:43], s[14:15], v[30:31]
	v_fma_f64 v[30:31], v[42:43], s[4:5], v[30:31]
	;; [unrolled: 1-line block ×5, first 2 shown]
	v_add_f64 v[34:35], v[100:101], v[102:103]
	v_fma_f64 v[42:43], v[44:45], s[10:11], v[30:31]
	v_add_f64 v[44:45], v[106:107], -v[120:121]
	v_add_f64 v[30:31], v[36:37], v[98:99]
	v_fma_f64 v[40:41], v[34:35], -0.5, v[36:37]
	v_add_f64 v[30:31], v[30:31], v[100:101]
	v_add_f64 v[100:101], v[60:61], -v[56:57]
	v_fma_f64 v[34:35], v[44:45], s[14:15], v[40:41]
	v_fma_f64 v[40:41], v[44:45], s[4:5], v[40:41]
	v_add_f64 v[30:31], v[30:31], v[102:103]
	v_add_f64 v[100:101], v[58:59], v[100:101]
	v_add_f64 v[102:103], v[56:57], -v[60:61]
	v_fma_f64 v[34:35], v[50:51], s[12:13], v[34:35]
	v_fma_f64 v[40:41], v[50:51], s[6:7], v[40:41]
	v_add_f64 v[30:31], v[30:31], v[104:105]
	v_fma_f64 v[34:35], v[48:49], s[10:11], v[34:35]
	v_fma_f64 v[40:41], v[48:49], s[10:11], v[40:41]
	v_add_f64 v[48:49], v[98:99], v[104:105]
	v_add_f64 v[98:99], v[80:81], -v[82:83]
	v_fma_f64 v[36:37], v[48:49], -0.5, v[36:37]
	v_fma_f64 v[48:49], v[50:51], s[4:5], v[36:37]
	v_fma_f64 v[36:37], v[50:51], s[14:15], v[36:37]
	;; [unrolled: 1-line block ×6, first 2 shown]
	v_add_f64 v[36:37], v[24:25], v[94:95]
	v_add_f64 v[52:53], v[78:79], -v[92:93]
	v_add_f64 v[36:37], v[36:37], v[96:97]
	v_add_f64 v[36:37], v[36:37], v[56:57]
	;; [unrolled: 1-line block ×4, first 2 shown]
	v_fma_f64 v[36:37], v[36:37], -0.5, v[24:25]
	v_fma_f64 v[54:55], v[52:53], s[4:5], v[36:37]
	v_fma_f64 v[36:37], v[52:53], s[14:15], v[36:37]
	;; [unrolled: 1-line block ×6, first 2 shown]
	v_add_f64 v[36:37], v[94:95], v[60:61]
	v_add_f64 v[100:101], v[96:97], -v[94:95]
	v_add_f64 v[94:95], v[94:95], -v[60:61]
	;; [unrolled: 1-line block ×3, first 2 shown]
	v_fma_f64 v[36:37], v[36:37], -0.5, v[24:25]
	v_add_f64 v[100:101], v[100:101], v[102:103]
	v_fma_f64 v[24:25], v[98:99], s[14:15], v[36:37]
	v_fma_f64 v[36:37], v[98:99], s[4:5], v[36:37]
	;; [unrolled: 1-line block ×6, first 2 shown]
	v_add_f64 v[36:37], v[26:27], v[78:79]
	v_add_f64 v[100:101], v[92:93], -v[82:83]
	v_add_f64 v[36:37], v[36:37], v[80:81]
	v_add_f64 v[36:37], v[36:37], v[82:83]
	;; [unrolled: 1-line block ×4, first 2 shown]
	v_fma_f64 v[36:37], v[36:37], -0.5, v[26:27]
	v_fma_f64 v[60:61], v[94:95], s[14:15], v[36:37]
	v_fma_f64 v[36:37], v[94:95], s[4:5], v[36:37]
	;; [unrolled: 1-line block ×3, first 2 shown]
	v_add_f64 v[60:61], v[78:79], -v[80:81]
	v_fma_f64 v[36:37], v[96:97], s[6:7], v[36:37]
	v_add_f64 v[100:101], v[60:61], v[100:101]
	v_fma_f64 v[60:61], v[100:101], s[10:11], v[56:57]
	v_fma_f64 v[56:57], v[100:101], s[10:11], v[36:37]
	v_add_f64 v[36:37], v[78:79], v[92:93]
	v_add_f64 v[78:79], v[80:81], -v[78:79]
	v_add_f64 v[80:81], v[82:83], -v[92:93]
	v_add_f64 v[92:93], v[70:71], -v[72:73]
	v_fma_f64 v[36:37], v[36:37], -0.5, v[26:27]
	v_add_f64 v[78:79], v[78:79], v[80:81]
	v_add_f64 v[80:81], v[62:63], -v[68:69]
	v_fma_f64 v[26:27], v[96:97], s[4:5], v[36:37]
	v_fma_f64 v[36:37], v[96:97], s[14:15], v[36:37]
	v_add_f64 v[96:97], v[76:77], -v[74:75]
	v_fma_f64 v[26:27], v[94:95], s[12:13], v[26:27]
	v_fma_f64 v[36:37], v[94:95], s[6:7], v[36:37]
	v_add_f64 v[94:95], v[64:65], -v[66:67]
	v_add_f64 v[96:97], v[92:93], v[96:97]
	v_fma_f64 v[26:27], v[78:79], s[10:11], v[26:27]
	v_fma_f64 v[100:101], v[78:79], s[10:11], v[36:37]
	v_add_f64 v[36:37], v[20:21], v[70:71]
	v_add_f64 v[36:37], v[36:37], v[72:73]
	;; [unrolled: 1-line block ×5, first 2 shown]
	v_fma_f64 v[36:37], v[36:37], -0.5, v[20:21]
	v_fma_f64 v[82:83], v[80:81], s[4:5], v[36:37]
	v_fma_f64 v[36:37], v[80:81], s[14:15], v[36:37]
	;; [unrolled: 1-line block ×6, first 2 shown]
	v_add_f64 v[36:37], v[70:71], v[76:77]
	v_add_f64 v[82:83], v[72:73], -v[70:71]
	v_add_f64 v[96:97], v[74:75], -v[76:77]
	;; [unrolled: 1-line block ×4, first 2 shown]
	v_fma_f64 v[36:37], v[36:37], -0.5, v[20:21]
	v_add_f64 v[82:83], v[82:83], v[96:97]
	v_fma_f64 v[20:21], v[94:95], s[14:15], v[36:37]
	v_fma_f64 v[36:37], v[94:95], s[4:5], v[36:37]
	;; [unrolled: 1-line block ×6, first 2 shown]
	v_add_f64 v[36:37], v[22:23], v[62:63]
	v_add_f64 v[82:83], v[68:69], -v[66:67]
	v_add_f64 v[36:37], v[36:37], v[64:65]
	v_add_f64 v[36:37], v[36:37], v[66:67]
	;; [unrolled: 1-line block ×4, first 2 shown]
	v_fma_f64 v[36:37], v[36:37], -0.5, v[22:23]
	v_fma_f64 v[76:77], v[70:71], s[14:15], v[36:37]
	v_fma_f64 v[36:37], v[70:71], s[4:5], v[36:37]
	;; [unrolled: 1-line block ×3, first 2 shown]
	v_add_f64 v[76:77], v[62:63], -v[64:65]
	v_fma_f64 v[36:37], v[72:73], s[6:7], v[36:37]
	v_add_f64 v[76:77], v[76:77], v[82:83]
	v_fma_f64 v[104:105], v[76:77], s[10:11], v[36:37]
	v_add_f64 v[36:37], v[62:63], v[68:69]
	v_add_f64 v[62:63], v[64:65], -v[62:63]
	v_add_f64 v[64:65], v[66:67], -v[68:69]
	v_fma_f64 v[94:95], v[76:77], s[10:11], v[74:75]
	v_fma_f64 v[36:37], v[36:37], -0.5, v[22:23]
	v_add_f64 v[62:63], v[62:63], v[64:65]
	v_fma_f64 v[22:23], v[72:73], s[4:5], v[36:37]
	v_fma_f64 v[36:37], v[72:73], s[14:15], v[36:37]
	;; [unrolled: 1-line block ×6, first 2 shown]
	v_mov_b32_e32 v37, 4
	v_mul_u32_u24_e32 v36, 0x7d0, v85
	v_lshlrev_b32_sdwa v62, v37, v89 dst_sel:DWORD dst_unused:UNUSED_PAD src0_sel:DWORD src1_sel:BYTE_0
	v_add3_u32 v36, 0, v36, v62
	ds_write_b128 v36, v[28:31]
	ds_write_b128 v36, v[32:35] offset:400
	ds_write_b128 v36, v[46:49] offset:800
	;; [unrolled: 1-line block ×4, first 2 shown]
	v_mul_u32_u24_e32 v28, 0x7d0, v114
	v_lshlrev_b32_sdwa v29, v37, v115 dst_sel:DWORD dst_unused:UNUSED_PAD src0_sel:DWORD src1_sel:BYTE_0
	v_add3_u32 v28, 0, v28, v29
	ds_write_b128 v28, v[50:53]
	ds_write_b128 v28, v[58:61] offset:400
	ds_write_b128 v28, v[24:27] offset:800
	;; [unrolled: 1-line block ×4, first 2 shown]
	v_mul_u32_u24_e32 v24, 0x7d0, v116
	v_lshlrev_b32_e32 v25, 4, v117
	v_add3_u32 v24, 0, v24, v25
	ds_write_b128 v24, v[78:81]
	ds_write_b128 v24, v[92:95] offset:400
	ds_write_b128 v24, v[20:23] offset:800
	;; [unrolled: 1-line block ×4, first 2 shown]
	s_and_saveexec_b64 s[16:17], vcc
	s_cbranch_execz .LBB0_23
; %bb.22:
	v_mul_u32_u24_sdwa v20, v90, s18 dst_sel:DWORD dst_unused:UNUSED_PAD src0_sel:WORD_0 src1_sel:DWORD
	v_sub_u16_sdwa v21, v90, v20 dst_sel:DWORD dst_unused:UNUSED_PAD src0_sel:DWORD src1_sel:WORD_1
	v_lshrrev_b16_e32 v21, 1, v21
	v_add_u16_sdwa v20, v21, v20 dst_sel:DWORD dst_unused:UNUSED_PAD src0_sel:DWORD src1_sel:WORD_1
	v_lshrrev_b16_e32 v20, 4, v20
	v_mul_lo_u16_e32 v20, 25, v20
	v_sub_u16_e32 v52, v90, v20
	v_lshlrev_b32_e32 v36, 6, v52
	global_load_dwordx4 v[20:23], v36, s[8:9] offset:336
	global_load_dwordx4 v[24:27], v36, s[8:9] offset:320
	global_load_dwordx4 v[28:31], v36, s[8:9] offset:352
	global_load_dwordx4 v[32:35], v36, s[8:9] offset:368
	s_waitcnt vmcnt(3)
	v_mul_f64 v[36:37], v[8:9], v[22:23]
	s_waitcnt vmcnt(2)
	v_mul_f64 v[38:39], v[4:5], v[26:27]
	;; [unrolled: 2-line block ×4, first 2 shown]
	v_mul_f64 v[22:23], v[10:11], v[22:23]
	v_mul_f64 v[30:31], v[14:15], v[30:31]
	;; [unrolled: 1-line block ×4, first 2 shown]
	v_fma_f64 v[10:11], v[10:11], v[20:21], -v[36:37]
	v_fma_f64 v[6:7], v[6:7], v[24:25], -v[38:39]
	v_fma_f64 v[14:15], v[14:15], v[28:29], -v[40:41]
	v_fma_f64 v[18:19], v[18:19], v[32:33], -v[42:43]
	v_fma_f64 v[8:9], v[8:9], v[20:21], v[22:23]
	v_fma_f64 v[12:13], v[12:13], v[28:29], v[30:31]
	;; [unrolled: 1-line block ×4, first 2 shown]
	v_add_f64 v[20:21], v[10:11], -v[6:7]
	v_add_f64 v[30:31], v[6:7], -v[10:11]
	;; [unrolled: 1-line block ×3, first 2 shown]
	v_add_f64 v[26:27], v[6:7], v[18:19]
	v_add_f64 v[32:33], v[18:19], -v[14:15]
	v_add_f64 v[34:35], v[10:11], v[14:15]
	v_add_f64 v[42:43], v[4:5], v[16:17]
	;; [unrolled: 1-line block ×4, first 2 shown]
	v_add_f64 v[28:29], v[4:5], -v[16:17]
	v_add_f64 v[38:39], v[8:9], -v[4:5]
	;; [unrolled: 1-line block ×3, first 2 shown]
	v_add_f64 v[4:5], v[0:1], v[4:5]
	v_add_f64 v[24:25], v[8:9], -v[12:13]
	v_add_f64 v[40:41], v[12:13], -v[16:17]
	;; [unrolled: 1-line block ×3, first 2 shown]
	v_add_f64 v[20:21], v[20:21], v[22:23]
	v_fma_f64 v[22:23], v[26:27], -0.5, v[2:3]
	v_add_f64 v[26:27], v[30:31], v[32:33]
	v_fma_f64 v[2:3], v[34:35], -0.5, v[2:3]
	v_fma_f64 v[32:33], v[42:43], -0.5, v[0:1]
	;; [unrolled: 1-line block ×3, first 2 shown]
	v_add_f64 v[44:45], v[10:11], -v[14:15]
	v_add_f64 v[10:11], v[36:37], v[10:11]
	v_add_f64 v[4:5], v[4:5], v[8:9]
	v_add_f64 v[48:49], v[16:17], -v[12:13]
	v_add_f64 v[30:31], v[38:39], v[40:41]
	v_fma_f64 v[8:9], v[24:25], s[14:15], v[22:23]
	v_fma_f64 v[22:23], v[24:25], s[4:5], v[22:23]
	;; [unrolled: 1-line block ×6, first 2 shown]
	v_add_f64 v[10:11], v[10:11], v[14:15]
	v_fma_f64 v[14:15], v[44:45], s[4:5], v[32:33]
	v_fma_f64 v[32:33], v[44:45], s[14:15], v[32:33]
	v_add_f64 v[4:5], v[4:5], v[12:13]
	v_add_f64 v[34:35], v[46:47], v[48:49]
	v_fma_f64 v[12:13], v[28:29], s[12:13], v[22:23]
	v_fma_f64 v[22:23], v[24:25], s[6:7], v[36:37]
	;; [unrolled: 1-line block ×8, first 2 shown]
	v_add_f64 v[2:3], v[10:11], v[18:19]
	v_add_f64 v[0:1], v[4:5], v[16:17]
	v_fma_f64 v[18:19], v[26:27], s[10:11], v[24:25]
	v_fma_f64 v[16:17], v[34:35], s[10:11], v[36:37]
	;; [unrolled: 1-line block ×8, first 2 shown]
	v_lshl_add_u32 v20, v52, 4, 0
	ds_write_b128 v20, v[0:3] offset:30000
	ds_write_b128 v20, v[16:19] offset:30400
	;; [unrolled: 1-line block ×5, first 2 shown]
.LBB0_23:
	s_or_b64 exec, exec, s[16:17]
	v_mul_u32_u24_e32 v0, 15, v84
	v_lshlrev_b32_e32 v60, 4, v0
	s_waitcnt lgkmcnt(0)
	s_barrier
	global_load_dwordx4 v[0:3], v60, s[8:9] offset:1920
	global_load_dwordx4 v[4:7], v60, s[8:9] offset:1936
	;; [unrolled: 1-line block ×15, first 2 shown]
	ds_read_b128 v[60:63], v113
	ds_read_b128 v[64:67], v112
	;; [unrolled: 1-line block ×4, first 2 shown]
	ds_read_b128 v[76:79], v110 offset:8000
	ds_read_b128 v[80:83], v110 offset:10000
	;; [unrolled: 1-line block ×8, first 2 shown]
	s_mov_b32 s4, 0x667f3bcd
	s_mov_b32 s5, 0xbfe6a09e
	;; [unrolled: 1-line block ×12, first 2 shown]
	v_cmp_ne_u32_e32 vcc, 0, v84
	s_waitcnt vmcnt(14) lgkmcnt(11)
	v_mul_f64 v[108:109], v[62:63], v[2:3]
	s_waitcnt vmcnt(13) lgkmcnt(10)
	v_mul_f64 v[122:123], v[66:67], v[6:7]
	v_mul_f64 v[2:3], v[60:61], v[2:3]
	;; [unrolled: 1-line block ×3, first 2 shown]
	s_waitcnt vmcnt(12) lgkmcnt(8)
	v_mul_f64 v[124:125], v[74:75], v[10:11]
	v_mul_f64 v[10:11], v[72:73], v[10:11]
	v_fma_f64 v[60:61], v[60:61], v[0:1], v[108:109]
	s_waitcnt vmcnt(11) lgkmcnt(7)
	v_mul_f64 v[108:109], v[78:79], v[14:15]
	v_fma_f64 v[64:65], v[64:65], v[4:5], v[122:123]
	s_waitcnt vmcnt(10) lgkmcnt(6)
	v_mul_f64 v[122:123], v[82:83], v[18:19]
	v_mul_f64 v[18:19], v[80:81], v[18:19]
	;; [unrolled: 1-line block ×3, first 2 shown]
	v_fma_f64 v[72:73], v[72:73], v[8:9], v[124:125]
	s_waitcnt vmcnt(8) lgkmcnt(4)
	v_mul_f64 v[124:125], v[98:99], v[26:27]
	v_fma_f64 v[62:63], v[62:63], v[0:1], -v[2:3]
	v_fma_f64 v[76:77], v[76:77], v[12:13], v[108:109]
	v_mul_f64 v[108:109], v[94:95], v[22:23]
	v_mul_f64 v[22:23], v[92:93], v[22:23]
	v_fma_f64 v[80:81], v[80:81], v[16:17], v[122:123]
	v_fma_f64 v[16:17], v[82:83], v[16:17], -v[18:19]
	v_mul_f64 v[18:19], v[96:97], v[26:27]
	s_waitcnt vmcnt(7) lgkmcnt(3)
	v_mul_f64 v[26:27], v[102:103], v[30:31]
	v_mul_f64 v[30:31], v[100:101], v[30:31]
	v_fma_f64 v[66:67], v[66:67], v[4:5], -v[6:7]
	ds_read_b128 v[0:3], v110 offset:24000
	ds_read_b128 v[4:7], v110 offset:26000
	v_fma_f64 v[74:75], v[74:75], v[8:9], -v[10:11]
	v_fma_f64 v[78:79], v[78:79], v[12:13], -v[14:15]
	ds_read_b128 v[8:11], v110 offset:28000
	ds_read_b128 v[12:15], v110 offset:30000
	s_waitcnt vmcnt(6) lgkmcnt(6)
	v_mul_f64 v[82:83], v[106:107], v[34:35]
	v_fma_f64 v[92:93], v[92:93], v[20:21], v[108:109]
	v_fma_f64 v[20:21], v[94:95], v[20:21], -v[22:23]
	v_mul_f64 v[22:23], v[104:105], v[34:35]
	s_waitcnt vmcnt(5) lgkmcnt(5)
	v_mul_f64 v[34:35], v[116:117], v[38:39]
	v_mul_f64 v[38:39], v[114:115], v[38:39]
	s_waitcnt vmcnt(4) lgkmcnt(4)
	v_mul_f64 v[94:95], v[120:121], v[42:43]
	v_fma_f64 v[96:97], v[96:97], v[24:25], v[124:125]
	v_fma_f64 v[18:19], v[98:99], v[24:25], -v[18:19]
	v_mul_f64 v[24:25], v[118:119], v[42:43]
	s_waitcnt vmcnt(3) lgkmcnt(3)
	v_mul_f64 v[42:43], v[2:3], v[46:47]
	v_mul_f64 v[46:47], v[0:1], v[46:47]
	;; [unrolled: 8-line block ×3, first 2 shown]
	v_fma_f64 v[82:83], v[104:105], v[32:33], v[82:83]
	v_fma_f64 v[22:23], v[106:107], v[32:33], -v[22:23]
	s_waitcnt vmcnt(0) lgkmcnt(0)
	v_mul_f64 v[32:33], v[12:13], v[58:59]
	v_fma_f64 v[34:35], v[114:115], v[36:37], v[34:35]
	v_fma_f64 v[36:37], v[116:117], v[36:37], -v[38:39]
	v_fma_f64 v[0:1], v[0:1], v[44:45], v[42:43]
	v_fma_f64 v[2:3], v[2:3], v[44:45], -v[46:47]
	;; [unrolled: 2-line block ×3, first 2 shown]
	v_mul_f64 v[100:101], v[14:15], v[58:59]
	v_fma_f64 v[6:7], v[6:7], v[48:49], -v[30:31]
	v_fma_f64 v[14:15], v[14:15], v[56:57], -v[32:33]
	v_add_f64 v[26:27], v[68:69], -v[26:27]
	v_add_f64 v[28:29], v[70:71], -v[28:29]
	;; [unrolled: 1-line block ×8, first 2 shown]
	v_fma_f64 v[38:39], v[118:119], v[40:41], v[94:95]
	v_fma_f64 v[24:25], v[120:121], v[40:41], -v[24:25]
	v_fma_f64 v[4:5], v[4:5], v[48:49], v[98:99]
	v_fma_f64 v[34:35], v[68:69], 2.0, -v[26:27]
	v_fma_f64 v[36:37], v[70:71], 2.0, -v[28:29]
	;; [unrolled: 1-line block ×8, first 2 shown]
	v_fma_f64 v[12:13], v[12:13], v[56:57], v[100:101]
	v_add_f64 v[50:51], v[60:61], -v[82:83]
	v_add_f64 v[40:41], v[34:35], -v[40:41]
	v_add_f64 v[42:43], v[36:37], -v[42:43]
	v_add_f64 v[22:23], v[62:63], -v[22:23]
	v_add_f64 v[4:5], v[80:81], -v[4:5]
	v_add_f64 v[48:49], v[44:45], -v[48:49]
	v_add_f64 v[20:21], v[46:47], -v[20:21]
	v_add_f64 v[6:7], v[16:17], -v[6:7]
	v_add_f64 v[38:39], v[72:73], -v[38:39]
	v_add_f64 v[24:25], v[74:75], -v[24:25]
	v_add_f64 v[12:13], v[96:97], -v[12:13]
	v_add_f64 v[14:15], v[18:19], -v[14:15]
	v_add_f64 v[2:3], v[26:27], v[2:3]
	v_add_f64 v[0:1], v[28:29], -v[0:1]
	v_add_f64 v[10:11], v[30:31], v[10:11]
	v_add_f64 v[8:9], v[32:33], -v[8:9]
	v_fma_f64 v[34:35], v[34:35], 2.0, -v[40:41]
	v_fma_f64 v[36:37], v[36:37], 2.0, -v[42:43]
	;; [unrolled: 1-line block ×16, first 2 shown]
	v_add_f64 v[6:7], v[50:51], v[6:7]
	v_add_f64 v[4:5], v[22:23], -v[4:5]
	v_add_f64 v[14:15], v[38:39], v[14:15]
	v_add_f64 v[12:13], v[24:25], -v[12:13]
	v_add_f64 v[68:69], v[34:35], -v[44:45]
	;; [unrolled: 1-line block ×3, first 2 shown]
	v_fma_f64 v[44:45], v[10:11], s[6:7], v[2:3]
	v_fma_f64 v[46:47], v[8:9], s[6:7], v[0:1]
	v_add_f64 v[56:57], v[52:53], -v[56:57]
	v_add_f64 v[16:17], v[54:55], -v[16:17]
	;; [unrolled: 1-line block ×4, first 2 shown]
	v_fma_f64 v[50:51], v[50:51], 2.0, -v[6:7]
	v_fma_f64 v[22:23], v[22:23], 2.0, -v[4:5]
	;; [unrolled: 1-line block ×4, first 2 shown]
	v_fma_f64 v[64:65], v[30:31], s[4:5], v[26:27]
	v_fma_f64 v[66:67], v[32:33], s[4:5], v[28:29]
	v_add_f64 v[72:73], v[40:41], v[20:21]
	v_fma_f64 v[76:77], v[8:9], s[6:7], v[44:45]
	v_fma_f64 v[78:79], v[10:11], s[4:5], v[46:47]
	v_fma_f64 v[52:53], v[52:53], 2.0, -v[56:57]
	v_fma_f64 v[54:55], v[54:55], 2.0, -v[16:17]
	;; [unrolled: 1-line block ×4, first 2 shown]
	v_fma_f64 v[64:65], v[32:33], s[6:7], v[64:65]
	v_fma_f64 v[66:67], v[30:31], s[4:5], v[66:67]
	v_add_f64 v[74:75], v[42:43], -v[48:49]
	v_fma_f64 v[30:31], v[36:37], 2.0, -v[70:71]
	v_fma_f64 v[32:33], v[40:41], 2.0, -v[72:73]
	v_fma_f64 v[8:9], v[38:39], s[4:5], v[50:51]
	v_fma_f64 v[10:11], v[24:25], s[4:5], v[22:23]
	v_fma_f64 v[36:37], v[2:3], 2.0, -v[76:77]
	v_fma_f64 v[40:41], v[0:1], 2.0, -v[78:79]
	v_fma_f64 v[0:1], v[14:15], s[6:7], v[6:7]
	v_fma_f64 v[2:3], v[12:13], s[6:7], v[4:5]
	v_fma_f64 v[20:21], v[34:35], 2.0, -v[68:69]
	v_fma_f64 v[34:35], v[42:43], 2.0, -v[74:75]
	v_add_f64 v[42:43], v[52:53], -v[58:59]
	v_add_f64 v[44:45], v[54:55], -v[60:61]
	v_fma_f64 v[46:47], v[24:25], s[6:7], v[8:9]
	v_fma_f64 v[38:39], v[38:39], s[4:5], v[10:11]
	v_add_f64 v[48:49], v[56:57], v[18:19]
	v_add_f64 v[58:59], v[16:17], -v[62:63]
	v_fma_f64 v[60:61], v[12:13], s[6:7], v[0:1]
	v_fma_f64 v[62:63], v[14:15], s[4:5], v[2:3]
	v_fma_f64 v[26:27], v[26:27], 2.0, -v[64:65]
	v_fma_f64 v[28:29], v[28:29], 2.0, -v[66:67]
	;; [unrolled: 1-line block ×10, first 2 shown]
	v_fma_f64 v[4:5], v[8:9], s[10:11], v[26:27]
	v_fma_f64 v[6:7], v[10:11], s[10:11], v[28:29]
	;; [unrolled: 1-line block ×6, first 2 shown]
	v_add_f64 v[0:1], v[20:21], -v[0:1]
	v_add_f64 v[2:3], v[30:31], -v[2:3]
	v_fma_f64 v[4:5], v[10:11], s[12:13], v[4:5]
	v_fma_f64 v[6:7], v[8:9], s[14:15], v[6:7]
	;; [unrolled: 1-line block ×7, first 2 shown]
	v_fma_f64 v[18:19], v[30:31], 2.0, -v[2:3]
	v_fma_f64 v[52:53], v[58:59], s[6:7], v[74:75]
	v_fma_f64 v[22:23], v[28:29], 2.0, -v[6:7]
	v_fma_f64 v[54:55], v[60:61], s[16:17], v[76:77]
	v_fma_f64 v[56:57], v[62:63], s[16:17], v[78:79]
	v_fma_f64 v[28:29], v[36:37], 2.0, -v[12:13]
	v_fma_f64 v[30:31], v[40:41], 2.0, -v[14:15]
	v_fma_f64 v[36:37], v[46:47], s[12:13], v[64:65]
	v_fma_f64 v[40:41], v[38:39], s[12:13], v[66:67]
	v_fma_f64 v[16:17], v[20:21], 2.0, -v[0:1]
	v_fma_f64 v[20:21], v[26:27], 2.0, -v[4:5]
	;; [unrolled: 1-line block ×4, first 2 shown]
	v_add_f64 v[32:33], v[68:69], v[44:45]
	v_add_f64 v[34:35], v[70:71], -v[42:43]
	v_fma_f64 v[36:37], v[38:39], s[16:17], v[36:37]
	v_fma_f64 v[38:39], v[46:47], s[10:11], v[40:41]
	;; [unrolled: 1-line block ×6, first 2 shown]
	v_fma_f64 v[48:49], v[68:69], 2.0, -v[32:33]
	v_fma_f64 v[50:51], v[70:71], 2.0, -v[34:35]
	;; [unrolled: 1-line block ×8, first 2 shown]
	s_barrier
	ds_write_b128 v110, v[16:19]
	ds_write_b128 v110, v[20:23] offset:2000
	ds_write_b128 v110, v[24:27] offset:4000
	;; [unrolled: 1-line block ×15, first 2 shown]
	s_waitcnt lgkmcnt(0)
	s_barrier
	ds_read_b128 v[4:7], v110
	s_add_u32 s6, s8, 0x7cb0
	v_lshlrev_b32_e32 v0, 4, v84
	s_addc_u32 s7, s9, 0
	v_sub_u32_e32 v12, 0, v0
                                        ; implicit-def: $vgpr0_vgpr1
                                        ; implicit-def: $vgpr8_vgpr9
                                        ; implicit-def: $vgpr10_vgpr11
	s_and_saveexec_b64 s[4:5], vcc
	s_xor_b64 s[4:5], exec, s[4:5]
	s_cbranch_execz .LBB0_25
; %bb.24:
	v_mov_b32_e32 v85, 0
	v_lshlrev_b64 v[0:1], 4, v[84:85]
	v_mov_b32_e32 v2, s7
	v_add_co_u32_e32 v0, vcc, s6, v0
	v_addc_co_u32_e32 v1, vcc, v2, v1, vcc
	global_load_dwordx4 v[13:16], v[0:1], off
	ds_read_b128 v[0:3], v12 offset:32000
	s_waitcnt lgkmcnt(0)
	v_add_f64 v[8:9], v[4:5], -v[0:1]
	v_add_f64 v[10:11], v[6:7], v[2:3]
	v_add_f64 v[2:3], v[6:7], -v[2:3]
	v_add_f64 v[0:1], v[4:5], v[0:1]
	v_mul_f64 v[6:7], v[8:9], 0.5
	v_mul_f64 v[4:5], v[10:11], 0.5
	;; [unrolled: 1-line block ×3, first 2 shown]
	s_waitcnt vmcnt(0)
	v_mul_f64 v[8:9], v[6:7], v[15:16]
	v_fma_f64 v[10:11], v[4:5], v[15:16], v[2:3]
	v_fma_f64 v[2:3], v[4:5], v[15:16], -v[2:3]
	v_fma_f64 v[17:18], v[0:1], 0.5, v[8:9]
	v_fma_f64 v[0:1], v[0:1], 0.5, -v[8:9]
	v_fma_f64 v[10:11], -v[13:14], v[6:7], v[10:11]
	v_fma_f64 v[2:3], -v[13:14], v[6:7], v[2:3]
	v_fma_f64 v[8:9], v[4:5], v[13:14], v[17:18]
	v_fma_f64 v[0:1], -v[4:5], v[13:14], v[0:1]
                                        ; implicit-def: $vgpr4_vgpr5
.LBB0_25:
	s_andn2_saveexec_b64 s[4:5], s[4:5]
	s_cbranch_execz .LBB0_27
; %bb.26:
	s_waitcnt lgkmcnt(0)
	v_add_f64 v[8:9], v[4:5], v[6:7]
	v_add_f64 v[0:1], v[4:5], -v[6:7]
	v_mov_b32_e32 v4, 0
	ds_read_b64 v[2:3], v4 offset:16008
	v_mov_b32_e32 v10, 0
	v_mov_b32_e32 v11, 0
	s_waitcnt lgkmcnt(0)
	v_xor_b32_e32 v3, 0x80000000, v3
	ds_write_b64 v4, v[2:3] offset:16008
	v_mov_b32_e32 v2, v10
	v_mov_b32_e32 v3, v11
.LBB0_27:
	s_or_b64 exec, exec, s[4:5]
	v_mov_b32_e32 v89, 0
	s_waitcnt lgkmcnt(0)
	v_lshlrev_b64 v[4:5], 4, v[88:89]
	v_mov_b32_e32 v6, s7
	v_add_co_u32_e32 v4, vcc, s6, v4
	v_addc_co_u32_e32 v5, vcc, v6, v5, vcc
	global_load_dwordx4 v[4:7], v[4:5], off
	v_mov_b32_e32 v92, v89
	v_lshlrev_b64 v[13:14], 4, v[91:92]
	v_mov_b32_e32 v15, s7
	v_add_co_u32_e32 v13, vcc, s6, v13
	v_addc_co_u32_e32 v14, vcc, v15, v14, vcc
	global_load_dwordx4 v[13:16], v[13:14], off
	ds_write2_b64 v110, v[8:9], v[10:11] offset1:1
	ds_write_b128 v12, v[0:3] offset:32000
	ds_read_b128 v[0:3], v113
	ds_read_b128 v[8:11], v12 offset:30000
	v_mov_b32_e32 v91, v89
	v_mov_b32_e32 v25, s7
	v_add_u32_e32 v88, 0x1f4, v84
	s_movk_i32 s5, 0x2000
	s_waitcnt lgkmcnt(0)
	v_add_f64 v[17:18], v[0:1], -v[8:9]
	v_add_f64 v[19:20], v[2:3], v[10:11]
	v_add_f64 v[2:3], v[2:3], -v[10:11]
	v_add_f64 v[0:1], v[0:1], v[8:9]
	s_movk_i32 s4, 0x3000
	v_mul_f64 v[10:11], v[17:18], 0.5
	v_mul_f64 v[17:18], v[19:20], 0.5
	;; [unrolled: 1-line block ×3, first 2 shown]
	v_lshlrev_b64 v[19:20], 4, v[90:91]
	s_waitcnt vmcnt(1)
	v_mul_f64 v[8:9], v[10:11], v[6:7]
	v_fma_f64 v[21:22], v[17:18], v[6:7], v[2:3]
	v_fma_f64 v[6:7], v[17:18], v[6:7], -v[2:3]
	v_fma_f64 v[23:24], v[0:1], 0.5, v[8:9]
	v_fma_f64 v[8:9], v[0:1], 0.5, -v[8:9]
	v_add_co_u32_e32 v0, vcc, s6, v19
	v_addc_co_u32_e32 v1, vcc, v25, v20, vcc
	global_load_dwordx4 v[0:3], v[0:1], off
	v_fma_f64 v[19:20], -v[4:5], v[10:11], v[21:22]
	v_fma_f64 v[6:7], -v[4:5], v[10:11], v[6:7]
	v_fma_f64 v[10:11], v[17:18], v[4:5], v[23:24]
	v_fma_f64 v[4:5], -v[17:18], v[4:5], v[8:9]
	ds_write_b64 v113, v[19:20] offset:8
	ds_write_b64 v12, v[6:7] offset:30008
	ds_write_b64 v113, v[10:11]
	ds_write_b64 v12, v[4:5] offset:30000
	ds_read_b128 v[4:7], v112
	ds_read_b128 v[8:11], v12 offset:28000
	s_waitcnt lgkmcnt(0)
	v_add_f64 v[17:18], v[4:5], -v[8:9]
	v_add_f64 v[19:20], v[6:7], v[10:11]
	v_add_f64 v[6:7], v[6:7], -v[10:11]
	v_add_f64 v[4:5], v[4:5], v[8:9]
	v_mul_f64 v[10:11], v[17:18], 0.5
	v_mul_f64 v[17:18], v[19:20], 0.5
	;; [unrolled: 1-line block ×3, first 2 shown]
	v_lshlrev_b64 v[19:20], 4, v[88:89]
	v_add_u32_e32 v88, 0x271, v84
	s_waitcnt vmcnt(1)
	v_mul_f64 v[8:9], v[10:11], v[15:16]
	v_fma_f64 v[21:22], v[17:18], v[15:16], v[6:7]
	v_fma_f64 v[15:16], v[17:18], v[15:16], -v[6:7]
	v_fma_f64 v[23:24], v[4:5], 0.5, v[8:9]
	v_fma_f64 v[8:9], v[4:5], 0.5, -v[8:9]
	v_add_co_u32_e32 v4, vcc, s6, v19
	v_addc_co_u32_e32 v5, vcc, v25, v20, vcc
	global_load_dwordx4 v[4:7], v[4:5], off
	v_fma_f64 v[19:20], -v[13:14], v[10:11], v[21:22]
	v_fma_f64 v[10:11], -v[13:14], v[10:11], v[15:16]
	v_fma_f64 v[15:16], v[17:18], v[13:14], v[23:24]
	v_fma_f64 v[8:9], -v[17:18], v[13:14], v[8:9]
	ds_write_b64 v112, v[19:20] offset:8
	ds_write_b64 v12, v[10:11] offset:28008
	ds_write_b64 v112, v[15:16]
	ds_write_b64 v12, v[8:9] offset:28000
	ds_read_b128 v[8:11], v111
	ds_read_b128 v[13:16], v12 offset:26000
	s_waitcnt lgkmcnt(0)
	v_add_f64 v[17:18], v[8:9], -v[13:14]
	v_add_f64 v[19:20], v[10:11], v[15:16]
	v_add_f64 v[10:11], v[10:11], -v[15:16]
	v_add_f64 v[8:9], v[8:9], v[13:14]
	v_mul_f64 v[15:16], v[17:18], 0.5
	v_mul_f64 v[17:18], v[19:20], 0.5
	;; [unrolled: 1-line block ×3, first 2 shown]
	v_lshlrev_b64 v[19:20], 4, v[88:89]
	v_add_u32_e32 v88, 0x2ee, v84
	s_waitcnt vmcnt(1)
	v_mul_f64 v[13:14], v[15:16], v[2:3]
	v_fma_f64 v[21:22], v[17:18], v[2:3], v[10:11]
	v_fma_f64 v[2:3], v[17:18], v[2:3], -v[10:11]
	v_fma_f64 v[23:24], v[8:9], 0.5, v[13:14]
	v_fma_f64 v[13:14], v[8:9], 0.5, -v[13:14]
	v_add_co_u32_e32 v8, vcc, s6, v19
	v_addc_co_u32_e32 v9, vcc, v25, v20, vcc
	global_load_dwordx4 v[8:11], v[8:9], off
	v_fma_f64 v[19:20], -v[0:1], v[15:16], v[21:22]
	v_fma_f64 v[2:3], -v[0:1], v[15:16], v[2:3]
	v_fma_f64 v[15:16], v[17:18], v[0:1], v[23:24]
	v_fma_f64 v[0:1], -v[17:18], v[0:1], v[13:14]
	ds_write2_b64 v111, v[15:16], v[19:20] offset1:1
	ds_write_b128 v12, v[0:3] offset:26000
	ds_read_b128 v[0:3], v110 offset:8000
	ds_read_b128 v[13:16], v12 offset:24000
	s_waitcnt lgkmcnt(0)
	v_add_f64 v[17:18], v[0:1], -v[13:14]
	v_add_f64 v[19:20], v[2:3], v[15:16]
	v_add_f64 v[2:3], v[2:3], -v[15:16]
	v_add_f64 v[0:1], v[0:1], v[13:14]
	v_mul_f64 v[15:16], v[17:18], 0.5
	v_mul_f64 v[17:18], v[19:20], 0.5
	;; [unrolled: 1-line block ×3, first 2 shown]
	v_lshlrev_b64 v[19:20], 4, v[88:89]
	v_add_u32_e32 v88, 0x36b, v84
	s_waitcnt vmcnt(1)
	v_mul_f64 v[13:14], v[15:16], v[6:7]
	v_fma_f64 v[21:22], v[17:18], v[6:7], v[2:3]
	v_fma_f64 v[6:7], v[17:18], v[6:7], -v[2:3]
	v_fma_f64 v[23:24], v[0:1], 0.5, v[13:14]
	v_fma_f64 v[13:14], v[0:1], 0.5, -v[13:14]
	v_add_co_u32_e32 v0, vcc, s6, v19
	v_addc_co_u32_e32 v1, vcc, v25, v20, vcc
	global_load_dwordx4 v[0:3], v[0:1], off
	v_fma_f64 v[19:20], -v[4:5], v[15:16], v[21:22]
	v_fma_f64 v[6:7], -v[4:5], v[15:16], v[6:7]
	v_fma_f64 v[15:16], v[17:18], v[4:5], v[23:24]
	v_fma_f64 v[4:5], -v[17:18], v[4:5], v[13:14]
	v_add_u32_e32 v13, 0x1800, v110
	ds_write2_b64 v13, v[15:16], v[19:20] offset0:232 offset1:233
	ds_write_b128 v12, v[4:7] offset:24000
	ds_read_b128 v[4:7], v110 offset:10000
	ds_read_b128 v[13:16], v12 offset:22000
	s_waitcnt lgkmcnt(0)
	v_add_f64 v[17:18], v[4:5], -v[13:14]
	v_add_f64 v[19:20], v[6:7], v[15:16]
	v_add_f64 v[6:7], v[6:7], -v[15:16]
	v_add_f64 v[4:5], v[4:5], v[13:14]
	v_mul_f64 v[15:16], v[17:18], 0.5
	v_mul_f64 v[17:18], v[19:20], 0.5
	;; [unrolled: 1-line block ×3, first 2 shown]
	v_lshlrev_b64 v[19:20], 4, v[88:89]
	s_waitcnt vmcnt(1)
	v_mul_f64 v[13:14], v[15:16], v[10:11]
	v_fma_f64 v[21:22], v[17:18], v[10:11], v[6:7]
	v_fma_f64 v[10:11], v[17:18], v[10:11], -v[6:7]
	v_fma_f64 v[23:24], v[4:5], 0.5, v[13:14]
	v_fma_f64 v[13:14], v[4:5], 0.5, -v[13:14]
	v_add_co_u32_e32 v4, vcc, s6, v19
	v_addc_co_u32_e32 v5, vcc, v25, v20, vcc
	global_load_dwordx4 v[4:7], v[4:5], off
	v_fma_f64 v[19:20], -v[8:9], v[15:16], v[21:22]
	v_fma_f64 v[10:11], -v[8:9], v[15:16], v[10:11]
	v_fma_f64 v[15:16], v[17:18], v[8:9], v[23:24]
	v_fma_f64 v[8:9], -v[17:18], v[8:9], v[13:14]
	v_add_u32_e32 v13, 0x2000, v110
	ds_write2_b64 v13, v[15:16], v[19:20] offset0:226 offset1:227
	ds_write_b128 v12, v[8:11] offset:22000
	ds_read_b128 v[8:11], v110 offset:12000
	ds_read_b128 v[13:16], v12 offset:20000
	s_waitcnt lgkmcnt(0)
	v_add_f64 v[17:18], v[8:9], -v[13:14]
	v_add_f64 v[19:20], v[10:11], v[15:16]
	v_add_f64 v[10:11], v[10:11], -v[15:16]
	v_add_f64 v[8:9], v[8:9], v[13:14]
	v_mul_f64 v[15:16], v[17:18], 0.5
	v_mul_f64 v[17:18], v[19:20], 0.5
	;; [unrolled: 1-line block ×3, first 2 shown]
	s_waitcnt vmcnt(1)
	v_mul_f64 v[13:14], v[15:16], v[2:3]
	v_fma_f64 v[19:20], v[17:18], v[2:3], v[10:11]
	v_fma_f64 v[2:3], v[17:18], v[2:3], -v[10:11]
	v_fma_f64 v[10:11], v[8:9], 0.5, v[13:14]
	v_fma_f64 v[8:9], v[8:9], 0.5, -v[13:14]
	v_fma_f64 v[13:14], -v[0:1], v[15:16], v[19:20]
	v_fma_f64 v[2:3], -v[0:1], v[15:16], v[2:3]
	v_fma_f64 v[10:11], v[17:18], v[0:1], v[10:11]
	v_fma_f64 v[0:1], -v[17:18], v[0:1], v[8:9]
	v_add_u32_e32 v8, 0x2800, v110
	ds_write2_b64 v8, v[10:11], v[13:14] offset0:220 offset1:221
	ds_write_b128 v12, v[0:3] offset:20000
	ds_read_b128 v[0:3], v110 offset:14000
	ds_read_b128 v[8:11], v12 offset:18000
	s_waitcnt lgkmcnt(0)
	v_add_f64 v[13:14], v[0:1], -v[8:9]
	v_add_f64 v[15:16], v[2:3], v[10:11]
	v_add_f64 v[2:3], v[2:3], -v[10:11]
	v_add_f64 v[0:1], v[0:1], v[8:9]
	v_mul_f64 v[10:11], v[13:14], 0.5
	v_mul_f64 v[13:14], v[15:16], 0.5
	;; [unrolled: 1-line block ×3, first 2 shown]
	s_waitcnt vmcnt(0)
	v_mul_f64 v[8:9], v[10:11], v[6:7]
	v_fma_f64 v[15:16], v[13:14], v[6:7], v[2:3]
	v_fma_f64 v[2:3], v[13:14], v[6:7], -v[2:3]
	v_fma_f64 v[6:7], v[0:1], 0.5, v[8:9]
	v_fma_f64 v[0:1], v[0:1], 0.5, -v[8:9]
	v_fma_f64 v[8:9], -v[4:5], v[10:11], v[15:16]
	v_fma_f64 v[2:3], -v[4:5], v[10:11], v[2:3]
	v_fma_f64 v[6:7], v[13:14], v[4:5], v[6:7]
	v_fma_f64 v[0:1], -v[13:14], v[4:5], v[0:1]
	v_add_u32_e32 v4, 0x3000, v110
	ds_write2_b64 v4, v[6:7], v[8:9] offset0:214 offset1:215
	ds_write_b128 v12, v[0:3] offset:18000
	s_waitcnt lgkmcnt(0)
	s_barrier
	s_and_saveexec_b64 s[6:7], s[0:1]
	s_cbranch_execz .LBB0_30
; %bb.28:
	v_mov_b32_e32 v85, v89
	v_mov_b32_e32 v0, s3
	v_add_co_u32_e32 v1, vcc, s2, v86
	v_lshlrev_b64 v[14:15], 4, v[84:85]
	ds_read_b128 v[2:5], v110
	ds_read_b128 v[6:9], v110 offset:2000
	ds_read_b128 v[10:13], v110 offset:4000
	v_addc_co_u32_e32 v0, vcc, v0, v87, vcc
	v_add_co_u32_e32 v14, vcc, v1, v14
	v_addc_co_u32_e32 v15, vcc, v0, v15, vcc
	s_waitcnt lgkmcnt(2)
	global_store_dwordx4 v[14:15], v[2:5], off
	s_waitcnt lgkmcnt(1)
	global_store_dwordx4 v[14:15], v[6:9], off offset:2000
	ds_read_b128 v[2:5], v110 offset:6000
	ds_read_b128 v[6:9], v110 offset:8000
	s_movk_i32 s0, 0x1000
	s_waitcnt lgkmcnt(2)
	global_store_dwordx4 v[14:15], v[10:13], off offset:4000
	s_nop 0
	v_add_co_u32_e32 v10, vcc, s0, v14
	v_addc_co_u32_e32 v11, vcc, 0, v15, vcc
	s_waitcnt lgkmcnt(1)
	global_store_dwordx4 v[10:11], v[2:5], off offset:1904
	ds_read_b128 v[2:5], v110 offset:10000
	s_waitcnt lgkmcnt(1)
	global_store_dwordx4 v[10:11], v[6:9], off offset:3904
	ds_read_b128 v[6:9], v110 offset:12000
	v_add_co_u32_e32 v10, vcc, s5, v14
	v_addc_co_u32_e32 v11, vcc, 0, v15, vcc
	s_waitcnt lgkmcnt(1)
	global_store_dwordx4 v[10:11], v[2:5], off offset:1808
	ds_read_b128 v[2:5], v110 offset:14000
	s_waitcnt lgkmcnt(1)
	global_store_dwordx4 v[10:11], v[6:9], off offset:3808
	ds_read_b128 v[6:9], v110 offset:16000
	;; [unrolled: 8-line block ×3, first 2 shown]
	s_movk_i32 s0, 0x4000
	v_add_co_u32_e32 v10, vcc, s0, v14
	v_addc_co_u32_e32 v11, vcc, 0, v15, vcc
	s_waitcnt lgkmcnt(1)
	global_store_dwordx4 v[10:11], v[2:5], off offset:1616
	ds_read_b128 v[2:5], v110 offset:22000
	s_waitcnt lgkmcnt(1)
	global_store_dwordx4 v[10:11], v[6:9], off offset:3616
	ds_read_b128 v[6:9], v110 offset:24000
	s_movk_i32 s0, 0x5000
	v_add_co_u32_e32 v10, vcc, s0, v14
	v_addc_co_u32_e32 v11, vcc, 0, v15, vcc
	s_waitcnt lgkmcnt(1)
	global_store_dwordx4 v[10:11], v[2:5], off offset:1520
	ds_read_b128 v[2:5], v110 offset:26000
	s_waitcnt lgkmcnt(1)
	global_store_dwordx4 v[10:11], v[6:9], off offset:3520
	ds_read_b128 v[6:9], v110 offset:28000
	v_add_co_u32_e32 v10, vcc, 0x6000, v14
	v_addc_co_u32_e32 v11, vcc, 0, v15, vcc
	s_waitcnt lgkmcnt(1)
	global_store_dwordx4 v[10:11], v[2:5], off offset:1424
	ds_read_b128 v[2:5], v110 offset:30000
	s_waitcnt lgkmcnt(1)
	global_store_dwordx4 v[10:11], v[6:9], off offset:3424
	s_movk_i32 s0, 0x7c
	v_add_co_u32_e32 v6, vcc, 0x7000, v14
	v_addc_co_u32_e32 v7, vcc, 0, v15, vcc
	v_cmp_eq_u32_e32 vcc, s0, v84
	s_waitcnt lgkmcnt(0)
	global_store_dwordx4 v[6:7], v[2:5], off offset:1328
	s_and_b64 exec, exec, vcc
	s_cbranch_execz .LBB0_30
; %bb.29:
	v_mov_b32_e32 v2, 0
	ds_read_b128 v[2:5], v2 offset:32000
	v_add_co_u32_e32 v6, vcc, 0x7000, v1
	v_addc_co_u32_e32 v7, vcc, 0, v0, vcc
	s_waitcnt lgkmcnt(0)
	global_store_dwordx4 v[6:7], v[2:5], off offset:3328
.LBB0_30:
	s_endpgm
	.section	.rodata,"a",@progbits
	.p2align	6, 0x0
	.amdhsa_kernel fft_rtc_back_len2000_factors_5_5_5_16_wgs_125_tpt_125_halfLds_dp_ip_CI_unitstride_sbrr_R2C_dirReg
		.amdhsa_group_segment_fixed_size 0
		.amdhsa_private_segment_fixed_size 0
		.amdhsa_kernarg_size 88
		.amdhsa_user_sgpr_count 6
		.amdhsa_user_sgpr_private_segment_buffer 1
		.amdhsa_user_sgpr_dispatch_ptr 0
		.amdhsa_user_sgpr_queue_ptr 0
		.amdhsa_user_sgpr_kernarg_segment_ptr 1
		.amdhsa_user_sgpr_dispatch_id 0
		.amdhsa_user_sgpr_flat_scratch_init 0
		.amdhsa_user_sgpr_private_segment_size 0
		.amdhsa_uses_dynamic_stack 0
		.amdhsa_system_sgpr_private_segment_wavefront_offset 0
		.amdhsa_system_sgpr_workgroup_id_x 1
		.amdhsa_system_sgpr_workgroup_id_y 0
		.amdhsa_system_sgpr_workgroup_id_z 0
		.amdhsa_system_sgpr_workgroup_info 0
		.amdhsa_system_vgpr_workitem_id 0
		.amdhsa_next_free_vgpr 134
		.amdhsa_next_free_sgpr 22
		.amdhsa_reserve_vcc 1
		.amdhsa_reserve_flat_scratch 0
		.amdhsa_float_round_mode_32 0
		.amdhsa_float_round_mode_16_64 0
		.amdhsa_float_denorm_mode_32 3
		.amdhsa_float_denorm_mode_16_64 3
		.amdhsa_dx10_clamp 1
		.amdhsa_ieee_mode 1
		.amdhsa_fp16_overflow 0
		.amdhsa_exception_fp_ieee_invalid_op 0
		.amdhsa_exception_fp_denorm_src 0
		.amdhsa_exception_fp_ieee_div_zero 0
		.amdhsa_exception_fp_ieee_overflow 0
		.amdhsa_exception_fp_ieee_underflow 0
		.amdhsa_exception_fp_ieee_inexact 0
		.amdhsa_exception_int_div_zero 0
	.end_amdhsa_kernel
	.text
.Lfunc_end0:
	.size	fft_rtc_back_len2000_factors_5_5_5_16_wgs_125_tpt_125_halfLds_dp_ip_CI_unitstride_sbrr_R2C_dirReg, .Lfunc_end0-fft_rtc_back_len2000_factors_5_5_5_16_wgs_125_tpt_125_halfLds_dp_ip_CI_unitstride_sbrr_R2C_dirReg
                                        ; -- End function
	.section	.AMDGPU.csdata,"",@progbits
; Kernel info:
; codeLenInByte = 14704
; NumSgprs: 26
; NumVgprs: 134
; ScratchSize: 0
; MemoryBound: 0
; FloatMode: 240
; IeeeMode: 1
; LDSByteSize: 0 bytes/workgroup (compile time only)
; SGPRBlocks: 3
; VGPRBlocks: 33
; NumSGPRsForWavesPerEU: 26
; NumVGPRsForWavesPerEU: 134
; Occupancy: 1
; WaveLimiterHint : 1
; COMPUTE_PGM_RSRC2:SCRATCH_EN: 0
; COMPUTE_PGM_RSRC2:USER_SGPR: 6
; COMPUTE_PGM_RSRC2:TRAP_HANDLER: 0
; COMPUTE_PGM_RSRC2:TGID_X_EN: 1
; COMPUTE_PGM_RSRC2:TGID_Y_EN: 0
; COMPUTE_PGM_RSRC2:TGID_Z_EN: 0
; COMPUTE_PGM_RSRC2:TIDIG_COMP_CNT: 0
	.type	__hip_cuid_4c992c0ee09da9d5,@object ; @__hip_cuid_4c992c0ee09da9d5
	.section	.bss,"aw",@nobits
	.globl	__hip_cuid_4c992c0ee09da9d5
__hip_cuid_4c992c0ee09da9d5:
	.byte	0                               ; 0x0
	.size	__hip_cuid_4c992c0ee09da9d5, 1

	.ident	"AMD clang version 19.0.0git (https://github.com/RadeonOpenCompute/llvm-project roc-6.4.0 25133 c7fe45cf4b819c5991fe208aaa96edf142730f1d)"
	.section	".note.GNU-stack","",@progbits
	.addrsig
	.addrsig_sym __hip_cuid_4c992c0ee09da9d5
	.amdgpu_metadata
---
amdhsa.kernels:
  - .args:
      - .actual_access:  read_only
        .address_space:  global
        .offset:         0
        .size:           8
        .value_kind:     global_buffer
      - .offset:         8
        .size:           8
        .value_kind:     by_value
      - .actual_access:  read_only
        .address_space:  global
        .offset:         16
        .size:           8
        .value_kind:     global_buffer
      - .actual_access:  read_only
        .address_space:  global
        .offset:         24
        .size:           8
        .value_kind:     global_buffer
      - .offset:         32
        .size:           8
        .value_kind:     by_value
      - .actual_access:  read_only
        .address_space:  global
        .offset:         40
        .size:           8
        .value_kind:     global_buffer
      - .actual_access:  read_only
        .address_space:  global
        .offset:         48
        .size:           8
        .value_kind:     global_buffer
      - .offset:         56
        .size:           4
        .value_kind:     by_value
      - .actual_access:  read_only
        .address_space:  global
        .offset:         64
        .size:           8
        .value_kind:     global_buffer
      - .actual_access:  read_only
        .address_space:  global
        .offset:         72
        .size:           8
        .value_kind:     global_buffer
      - .address_space:  global
        .offset:         80
        .size:           8
        .value_kind:     global_buffer
    .group_segment_fixed_size: 0
    .kernarg_segment_align: 8
    .kernarg_segment_size: 88
    .language:       OpenCL C
    .language_version:
      - 2
      - 0
    .max_flat_workgroup_size: 125
    .name:           fft_rtc_back_len2000_factors_5_5_5_16_wgs_125_tpt_125_halfLds_dp_ip_CI_unitstride_sbrr_R2C_dirReg
    .private_segment_fixed_size: 0
    .sgpr_count:     26
    .sgpr_spill_count: 0
    .symbol:         fft_rtc_back_len2000_factors_5_5_5_16_wgs_125_tpt_125_halfLds_dp_ip_CI_unitstride_sbrr_R2C_dirReg.kd
    .uniform_work_group_size: 1
    .uses_dynamic_stack: false
    .vgpr_count:     134
    .vgpr_spill_count: 0
    .wavefront_size: 64
amdhsa.target:   amdgcn-amd-amdhsa--gfx906
amdhsa.version:
  - 1
  - 2
...

	.end_amdgpu_metadata
